;; amdgpu-corpus repo=ROCm/rocFFT kind=compiled arch=gfx906 opt=O3
	.text
	.amdgcn_target "amdgcn-amd-amdhsa--gfx906"
	.amdhsa_code_object_version 6
	.protected	bluestein_single_fwd_len39_dim1_dp_op_CI_CI ; -- Begin function bluestein_single_fwd_len39_dim1_dp_op_CI_CI
	.globl	bluestein_single_fwd_len39_dim1_dp_op_CI_CI
	.p2align	8
	.type	bluestein_single_fwd_len39_dim1_dp_op_CI_CI,@function
bluestein_single_fwd_len39_dim1_dp_op_CI_CI: ; @bluestein_single_fwd_len39_dim1_dp_op_CI_CI
; %bb.0:
	v_mul_u32_u24_e32 v1, 0x13b2, v0
	s_load_dwordx4 s[0:3], s[4:5], 0x28
	v_lshrrev_b32_e32 v1, 16, v1
	v_mad_u64_u32 v[92:93], s[6:7], s6, 19, v[1:2]
	v_mov_b32_e32 v93, 0
	s_waitcnt lgkmcnt(0)
	v_cmp_gt_u64_e32 vcc, s[0:1], v[92:93]
	s_and_saveexec_b64 s[0:1], vcc
	s_cbranch_execz .LBB0_15
; %bb.1:
	s_mov_b32 s0, 0xaf286bcb
	v_mul_hi_u32 v2, v92, s0
	s_load_dwordx2 s[6:7], s[4:5], 0x0
	s_load_dwordx2 s[12:13], s[4:5], 0x38
	v_mul_lo_u16_e32 v1, 13, v1
	v_sub_u16_e32 v172, v0, v1
	v_sub_u32_e32 v3, v92, v2
	v_lshrrev_b32_e32 v3, 1, v3
	v_add_u32_e32 v2, v3, v2
	v_lshrrev_b32_e32 v2, 4, v2
	v_mul_lo_u32 v2, v2, 19
	v_cmp_gt_u16_e32 vcc, 3, v172
	v_lshlrev_b32_e32 v171, 4, v172
	v_or_b32_e32 v173, 12, v172
	v_sub_u32_e32 v0, v92, v2
	v_mul_u32_u24_e32 v174, 39, v0
	v_lshlrev_b32_e32 v175, 4, v174
	v_or_b32_e32 v170, 24, v172
	v_or_b32_e32 v169, 36, v172
	s_and_saveexec_b64 s[14:15], vcc
	s_cbranch_execz .LBB0_3
; %bb.2:
	s_load_dwordx2 s[0:1], s[4:5], 0x18
	v_mov_b32_e32 v72, 0x60
	s_waitcnt lgkmcnt(0)
	s_load_dwordx4 s[8:11], s[0:1], 0x0
	s_waitcnt lgkmcnt(0)
	v_mad_u64_u32 v[0:1], s[0:1], s10, v92, 0
	v_mad_u64_u32 v[2:3], s[0:1], s8, v172, 0
	s_mul_i32 s10, s9, 0x60
	v_mad_u64_u32 v[4:5], s[0:1], s11, v92, v[1:2]
	v_mad_u64_u32 v[5:6], s[0:1], s9, v172, v[3:4]
	v_mov_b32_e32 v1, v4
	v_lshlrev_b64 v[0:1], 4, v[0:1]
	v_mov_b32_e32 v3, v5
	v_mov_b32_e32 v6, s3
	v_lshlrev_b64 v[2:3], 4, v[2:3]
	v_add_co_u32_e64 v16, s[0:1], s2, v0
	v_addc_co_u32_e64 v17, s[0:1], v6, v1, s[0:1]
	v_add_co_u32_e64 v18, s[0:1], v16, v2
	v_addc_co_u32_e64 v19, s[0:1], v17, v3, s[0:1]
	s_mul_i32 s0, s9, 48
	s_mul_hi_u32 s3, s8, 48
	s_add_i32 s3, s3, s0
	s_mul_i32 s2, s8, 48
	v_mov_b32_e32 v0, s3
	v_add_co_u32_e64 v20, s[0:1], s2, v18
	v_addc_co_u32_e64 v21, s[0:1], v19, v0, s[0:1]
	global_load_dwordx4 v[8:11], v[18:19], off
	global_load_dwordx4 v[0:3], v[20:21], off
	global_load_dwordx4 v[12:15], v171, s[6:7]
	global_load_dwordx4 v[4:7], v171, s[6:7] offset:48
	v_mov_b32_e32 v18, s3
	v_add_co_u32_e64 v34, s[0:1], s2, v20
	v_addc_co_u32_e64 v35, s[0:1], v21, v18, s[0:1]
	v_mad_u64_u32 v[36:37], s[0:1], s8, v173, 0
	v_add_co_u32_e64 v38, s[0:1], s2, v34
	v_addc_co_u32_e64 v39, s[0:1], v35, v18, s[0:1]
	v_mov_b32_e32 v18, v37
	v_mad_u64_u32 v[40:41], s[0:1], s9, v173, v[18:19]
	global_load_dwordx4 v[18:21], v[34:35], off
	global_load_dwordx4 v[22:25], v[38:39], off
	global_load_dwordx4 v[26:29], v171, s[6:7] offset:96
	global_load_dwordx4 v[30:33], v171, s[6:7] offset:144
	v_mad_u64_u32 v[50:51], s[0:1], s8, v72, v[38:39]
	v_mov_b32_e32 v37, v40
	v_lshlrev_b64 v[34:35], 4, v[36:37]
	v_add_u32_e32 v51, s10, v51
	v_add_co_u32_e64 v34, s[0:1], v16, v34
	v_addc_co_u32_e64 v35, s[0:1], v17, v35, s[0:1]
	v_mov_b32_e32 v52, s3
	v_add_co_u32_e64 v54, s[0:1], s2, v50
	v_addc_co_u32_e64 v55, s[0:1], v51, v52, s[0:1]
	v_mad_u64_u32 v[66:67], s[0:1], s8, v170, 0
	global_load_dwordx4 v[34:37], v[34:35], off
	s_nop 0
	global_load_dwordx4 v[38:41], v[50:51], off
	global_load_dwordx4 v[42:45], v171, s[6:7] offset:192
	global_load_dwordx4 v[46:49], v171, s[6:7] offset:240
	v_mov_b32_e32 v56, s3
	global_load_dwordx4 v[50:53], v[54:55], off
	v_add_co_u32_e64 v68, s[0:1], s2, v54
	v_mov_b32_e32 v54, v67
	v_addc_co_u32_e64 v69, s[0:1], v55, v56, s[0:1]
	v_mad_u64_u32 v[70:71], s[0:1], s9, v170, v[54:55]
	v_mad_u64_u32 v[82:83], s[0:1], s8, v72, v[68:69]
	v_mov_b32_e32 v67, v70
	v_lshlrev_b64 v[66:67], 4, v[66:67]
	v_add_u32_e32 v83, s10, v83
	v_add_co_u32_e64 v66, s[0:1], v16, v66
	v_addc_co_u32_e64 v67, s[0:1], v17, v67, s[0:1]
	v_mov_b32_e32 v84, s3
	v_add_co_u32_e64 v86, s[0:1], s2, v82
	v_addc_co_u32_e64 v87, s[0:1], v83, v84, s[0:1]
	v_mad_u64_u32 v[90:91], s[0:1], s8, v169, 0
	global_load_dwordx4 v[54:57], v[68:69], off
	global_load_dwordx4 v[58:61], v171, s[6:7] offset:288
	global_load_dwordx4 v[62:65], v171, s[6:7] offset:336
	v_mov_b32_e32 v88, s3
	global_load_dwordx4 v[66:69], v[66:67], off
	s_nop 0
	global_load_dwordx4 v[70:73], v[82:83], off
	global_load_dwordx4 v[74:77], v171, s[6:7] offset:384
	global_load_dwordx4 v[78:81], v171, s[6:7] offset:432
	v_add_co_u32_e64 v101, s[0:1], s2, v86
	global_load_dwordx4 v[82:85], v[86:87], off
	v_mov_b32_e32 v86, v91
	v_addc_co_u32_e64 v102, s[0:1], v87, v88, s[0:1]
	v_mad_u64_u32 v[103:104], s[0:1], s9, v169, v[86:87]
	global_load_dwordx4 v[86:89], v[101:102], off
	global_load_dwordx4 v[93:96], v171, s[6:7] offset:480
	global_load_dwordx4 v[97:100], v171, s[6:7] offset:528
	v_mov_b32_e32 v91, v103
	v_lshlrev_b64 v[90:91], 4, v[90:91]
	v_add_co_u32_e64 v16, s[0:1], v16, v90
	v_addc_co_u32_e64 v17, s[0:1], v17, v91, s[0:1]
	global_load_dwordx4 v[101:104], v[16:17], off
	global_load_dwordx4 v[105:108], v171, s[6:7] offset:576
	s_waitcnt vmcnt(23)
	v_mul_f64 v[16:17], v[10:11], v[14:15]
	v_mul_f64 v[14:15], v[8:9], v[14:15]
	v_fma_f64 v[8:9], v[8:9], v[12:13], v[16:17]
	v_fma_f64 v[10:11], v[10:11], v[12:13], -v[14:15]
	s_waitcnt vmcnt(22)
	v_mul_f64 v[12:13], v[2:3], v[6:7]
	v_mul_f64 v[6:7], v[0:1], v[6:7]
	s_waitcnt vmcnt(19)
	v_mul_f64 v[14:15], v[20:21], v[28:29]
	v_mul_f64 v[16:17], v[18:19], v[28:29]
	;; [unrolled: 3-line block ×3, first 2 shown]
	v_fma_f64 v[0:1], v[0:1], v[4:5], v[12:13]
	v_fma_f64 v[2:3], v[2:3], v[4:5], -v[6:7]
	v_fma_f64 v[4:5], v[18:19], v[26:27], v[14:15]
	v_fma_f64 v[6:7], v[20:21], v[26:27], -v[16:17]
	;; [unrolled: 2-line block ×3, first 2 shown]
	v_lshl_add_u32 v20, v172, 4, v175
	v_add_u32_e32 v32, v175, v171
	ds_write_b128 v20, v[8:11]
	s_waitcnt vmcnt(15)
	v_mul_f64 v[90:91], v[36:37], v[44:45]
	v_mul_f64 v[44:45], v[34:35], v[44:45]
	v_fma_f64 v[16:17], v[34:35], v[42:43], v[90:91]
	v_fma_f64 v[18:19], v[36:37], v[42:43], -v[44:45]
	ds_write_b128 v32, v[0:3] offset:48
	ds_write_b128 v32, v[4:7] offset:96
	;; [unrolled: 1-line block ×4, first 2 shown]
	s_waitcnt vmcnt(14)
	v_mul_f64 v[0:1], v[40:41], v[48:49]
	v_mul_f64 v[2:3], v[38:39], v[48:49]
	v_fma_f64 v[0:1], v[38:39], v[46:47], v[0:1]
	v_fma_f64 v[2:3], v[40:41], v[46:47], -v[2:3]
	s_waitcnt vmcnt(11)
	v_mul_f64 v[4:5], v[52:53], v[60:61]
	v_mul_f64 v[6:7], v[50:51], v[60:61]
	s_waitcnt vmcnt(10)
	v_mul_f64 v[8:9], v[56:57], v[64:65]
	v_mul_f64 v[10:11], v[54:55], v[64:65]
	s_waitcnt vmcnt(7)
	v_mul_f64 v[12:13], v[68:69], v[76:77]
	v_mul_f64 v[14:15], v[66:67], v[76:77]
	s_waitcnt vmcnt(6)
	v_mul_f64 v[16:17], v[72:73], v[80:81]
	v_mul_f64 v[18:19], v[70:71], v[80:81]
	v_fma_f64 v[4:5], v[50:51], v[58:59], v[4:5]
	v_fma_f64 v[6:7], v[52:53], v[58:59], -v[6:7]
	v_fma_f64 v[8:9], v[54:55], v[62:63], v[8:9]
	v_fma_f64 v[10:11], v[56:57], v[62:63], -v[10:11]
	s_waitcnt vmcnt(3)
	v_mul_f64 v[20:21], v[84:85], v[95:96]
	v_mul_f64 v[22:23], v[82:83], v[95:96]
	s_waitcnt vmcnt(2)
	v_mul_f64 v[24:25], v[88:89], v[99:100]
	v_mul_f64 v[26:27], v[86:87], v[99:100]
	v_fma_f64 v[12:13], v[66:67], v[74:75], v[12:13]
	v_fma_f64 v[14:15], v[68:69], v[74:75], -v[14:15]
	v_fma_f64 v[16:17], v[70:71], v[78:79], v[16:17]
	v_fma_f64 v[18:19], v[72:73], v[78:79], -v[18:19]
	;; [unrolled: 2-line block ×3, first 2 shown]
	s_waitcnt vmcnt(0)
	v_mul_f64 v[28:29], v[103:104], v[107:108]
	v_mul_f64 v[30:31], v[101:102], v[107:108]
	v_fma_f64 v[24:25], v[86:87], v[97:98], v[24:25]
	v_fma_f64 v[26:27], v[88:89], v[97:98], -v[26:27]
	v_fma_f64 v[28:29], v[101:102], v[105:106], v[28:29]
	v_fma_f64 v[30:31], v[103:104], v[105:106], -v[30:31]
	ds_write_b128 v32, v[0:3] offset:240
	ds_write_b128 v32, v[4:7] offset:288
	;; [unrolled: 1-line block ×8, first 2 shown]
.LBB0_3:
	s_or_b64 exec, exec, s[14:15]
	s_load_dwordx2 s[0:1], s[4:5], 0x20
	s_load_dwordx2 s[8:9], s[4:5], 0x8
	s_waitcnt lgkmcnt(0)
	s_barrier
	s_waitcnt lgkmcnt(0)
                                        ; implicit-def: $vgpr74_vgpr75
                                        ; implicit-def: $vgpr70_vgpr71
                                        ; implicit-def: $vgpr66_vgpr67
                                        ; implicit-def: $vgpr62_vgpr63
                                        ; implicit-def: $vgpr58_vgpr59
                                        ; implicit-def: $vgpr54_vgpr55
                                        ; implicit-def: $vgpr50_vgpr51
                                        ; implicit-def: $vgpr46_vgpr47
                                        ; implicit-def: $vgpr42_vgpr43
                                        ; implicit-def: $vgpr76_vgpr77
                                        ; implicit-def: $vgpr80_vgpr81
                                        ; implicit-def: $vgpr84_vgpr85
                                        ; implicit-def: $vgpr88_vgpr89
	s_and_saveexec_b64 s[2:3], vcc
	s_cbranch_execz .LBB0_5
; %bb.4:
	v_lshl_add_u32 v0, v174, 4, v171
	ds_read_b128 v[40:43], v0
	ds_read_b128 v[44:47], v0 offset:48
	ds_read_b128 v[48:51], v0 offset:96
	;; [unrolled: 1-line block ×12, first 2 shown]
.LBB0_5:
	s_or_b64 exec, exec, s[2:3]
	s_waitcnt lgkmcnt(0)
	v_add_f64 v[24:25], v[46:47], -v[90:91]
	s_mov_b32 s10, 0x4267c47c
	s_mov_b32 s11, 0xbfddbe06
	v_add_f64 v[97:98], v[44:45], v[88:89]
	v_add_f64 v[26:27], v[50:51], -v[86:87]
	v_add_f64 v[30:31], v[44:45], -v[88:89]
	s_mov_b32 s2, 0xe00740e9
	s_mov_b32 s26, 0x42a4c3d2
	v_mul_f64 v[93:94], v[24:25], s[10:11]
	s_mov_b32 s3, 0x3fec55a7
	s_mov_b32 s27, 0xbfea55e2
	v_add_f64 v[101:102], v[48:49], v[84:85]
	v_add_f64 v[113:114], v[46:47], v[90:91]
	v_add_f64 v[28:29], v[48:49], -v[84:85]
	v_mul_f64 v[95:96], v[26:27], s[26:27]
	v_mul_f64 v[99:100], v[30:31], s[10:11]
	v_fma_f64 v[0:1], v[97:98], s[2:3], v[93:94]
	v_add_f64 v[32:33], v[54:55], -v[82:83]
	s_mov_b32 s4, 0x1ea71119
	s_mov_b32 s16, 0x66966769
	;; [unrolled: 1-line block ×4, first 2 shown]
	v_add_f64 v[103:104], v[50:51], v[86:87]
	v_mul_f64 v[107:108], v[28:29], s[26:27]
	v_fma_f64 v[2:3], v[101:102], s[4:5], v[95:96]
	v_fma_f64 v[4:5], v[113:114], s[2:3], -v[99:100]
	v_add_f64 v[0:1], v[40:41], v[0:1]
	v_add_f64 v[109:110], v[52:53], v[80:81]
	v_mul_f64 v[105:106], v[32:33], s[16:17]
	v_add_f64 v[34:35], v[52:53], -v[80:81]
	v_add_f64 v[36:37], v[58:59], -v[78:79]
	s_mov_b32 s14, 0xebaa3ed8
	s_mov_b32 s24, 0x2ef20147
	s_mov_b32 s15, 0x3fbedb7d
	s_mov_b32 s25, 0xbfedeba7
	v_fma_f64 v[6:7], v[103:104], s[4:5], -v[107:108]
	v_add_f64 v[4:5], v[42:43], v[4:5]
	v_add_f64 v[0:1], v[2:3], v[0:1]
	v_fma_f64 v[2:3], v[109:110], s[14:15], v[105:106]
	v_add_f64 v[119:120], v[54:55], v[82:83]
	v_mul_f64 v[115:116], v[34:35], s[16:17]
	v_add_f64 v[117:118], v[56:57], v[76:77]
	v_mul_f64 v[111:112], v[36:37], s[24:25]
	v_add_f64 v[38:39], v[56:57], -v[76:77]
	v_add_f64 v[163:164], v[72:73], v[60:61]
	s_mov_b32 s20, 0xb2365da1
	s_mov_b32 s18, 0xd0032e0c
	;; [unrolled: 1-line block ×4, first 2 shown]
	v_add_f64 v[4:5], v[6:7], v[4:5]
	v_add_f64 v[0:1], v[2:3], v[0:1]
	v_fma_f64 v[2:3], v[119:120], s[14:15], -v[115:116]
	v_add_f64 v[127:128], v[58:59], v[78:79]
	v_mul_f64 v[121:122], v[38:39], s[24:25]
	v_fma_f64 v[6:7], v[117:118], s[20:21], v[111:112]
	v_add_f64 v[167:168], v[60:61], -v[72:73]
	v_add_f64 v[129:130], v[62:63], -v[74:75]
	v_mul_f64 v[123:124], v[163:164], s[18:19]
	s_mov_b32 s22, 0x24c2f84
	s_mov_b32 s23, 0xbfe5384d
	v_add_f64 v[2:3], v[2:3], v[4:5]
	v_fma_f64 v[4:5], v[127:128], s[20:21], -v[121:122]
	v_add_f64 v[131:132], v[74:75], v[62:63]
	v_mul_f64 v[125:126], v[167:168], s[22:23]
	v_add_f64 v[0:1], v[6:7], v[0:1]
	v_fma_f64 v[6:7], v[129:130], s[22:23], v[123:124]
	v_mul_f64 v[135:136], v[24:25], s[26:27]
	v_mul_f64 v[149:150], v[30:31], s[26:27]
	;; [unrolled: 1-line block ×3, first 2 shown]
	v_add_f64 v[2:3], v[4:5], v[2:3]
	v_mul_f64 v[151:152], v[28:29], s[24:25]
	v_fma_f64 v[4:5], v[131:132], s[18:19], -v[125:126]
	s_mov_b32 s28, 0x4bc48dbf
	v_add_f64 v[0:1], v[6:7], v[0:1]
	v_fma_f64 v[6:7], v[97:98], s[4:5], v[135:136]
	v_fma_f64 v[8:9], v[113:114], s[4:5], -v[149:150]
	s_mov_b32 s29, 0xbfcea1e5
	v_mul_f64 v[141:142], v[32:33], s[28:29]
	v_fma_f64 v[10:11], v[103:104], s[20:21], -v[151:152]
	v_add_f64 v[2:3], v[4:5], v[2:3]
	s_mov_b32 s30, 0x93053d00
	s_mov_b32 s31, 0xbfef11f4
	v_add_f64 v[4:5], v[40:41], v[6:7]
	v_fma_f64 v[6:7], v[101:102], s[20:21], v[137:138]
	v_add_f64 v[8:9], v[42:43], v[8:9]
	v_mul_f64 v[155:156], v[34:35], s[28:29]
	s_mov_b32 s43, 0x3fe5384d
	s_mov_b32 s42, s22
	v_mul_f64 v[157:158], v[38:39], s[42:43]
	s_mov_b32 s35, 0x3fefc445
	s_mov_b32 s34, s16
	v_add_f64 v[4:5], v[6:7], v[4:5]
	v_add_f64 v[6:7], v[10:11], v[8:9]
	v_fma_f64 v[8:9], v[109:110], s[30:31], v[141:142]
	v_fma_f64 v[10:11], v[119:120], s[30:31], -v[155:156]
	v_add_f64 v[176:177], v[68:69], v[64:65]
	v_add_f64 v[178:179], v[64:65], -v[68:69]
	v_mul_f64 v[143:144], v[36:37], s[42:43]
	v_fma_f64 v[14:15], v[127:128], s[18:19], -v[157:158]
	v_mul_f64 v[161:162], v[167:168], s[34:35]
	v_mul_f64 v[18:19], v[26:27], s[28:29]
	v_add_f64 v[4:5], v[8:9], v[4:5]
	v_mul_f64 v[8:9], v[24:25], s[16:17]
	v_add_f64 v[6:7], v[10:11], v[6:7]
	v_mul_f64 v[20:21], v[30:31], s[16:17]
	s_mov_b32 s39, 0x3fedeba7
	s_mov_b32 s38, s24
	;; [unrolled: 1-line block ×4, first 2 shown]
	v_add_f64 v[145:146], v[66:67], -v[70:71]
	v_fma_f64 v[16:17], v[97:98], s[14:15], -v[8:9]
	v_mul_f64 v[133:134], v[176:177], s[30:31]
	v_add_f64 v[153:154], v[70:71], v[66:67]
	v_fma_f64 v[10:11], v[117:118], s[18:19], v[143:144]
	v_mul_f64 v[147:148], v[163:164], s[14:15]
	v_add_f64 v[6:7], v[14:15], v[6:7]
	v_fma_f64 v[14:15], v[131:132], s[14:15], -v[161:162]
	v_fma_f64 v[180:181], v[101:102], s[30:31], -v[18:19]
	v_add_f64 v[16:17], v[40:41], v[16:17]
	v_fma_f64 v[182:183], v[113:114], s[14:15], v[20:21]
	v_mul_f64 v[184:185], v[28:29], s[28:29]
	v_mul_f64 v[186:187], v[32:33], s[38:39]
	;; [unrolled: 1-line block ×3, first 2 shown]
	v_fma_f64 v[12:13], v[145:146], s[28:29], v[133:134]
	v_mul_f64 v[139:140], v[178:179], s[28:29]
	v_add_f64 v[4:5], v[10:11], v[4:5]
	v_fma_f64 v[10:11], v[129:130], s[34:35], v[147:148]
	v_mul_f64 v[159:160], v[176:177], s[2:3]
	v_add_f64 v[16:17], v[180:181], v[16:17]
	v_add_f64 v[180:181], v[42:43], v[182:183]
	v_fma_f64 v[182:183], v[103:104], s[30:31], v[184:185]
	v_fma_f64 v[188:189], v[109:110], s[20:21], -v[186:187]
	v_mul_f64 v[190:191], v[34:35], s[38:39]
	v_mul_f64 v[192:193], v[36:37], s[36:37]
	v_add_f64 v[6:7], v[14:15], v[6:7]
	v_fma_f64 v[14:15], v[153:154], s[2:3], -v[165:166]
	v_fma_f64 v[22:23], v[153:154], s[30:31], -v[139:140]
	v_add_f64 v[4:5], v[10:11], v[4:5]
	v_fma_f64 v[10:11], v[145:146], s[36:37], v[159:160]
	v_add_f64 v[180:181], v[182:183], v[180:181]
	v_add_f64 v[16:17], v[188:189], v[16:17]
	v_fma_f64 v[182:183], v[119:120], s[20:21], v[190:191]
	v_fma_f64 v[188:189], v[117:118], s[2:3], -v[192:193]
	v_add_f64 v[0:1], v[12:13], v[0:1]
	v_mul_f64 v[12:13], v[38:39], s[36:37]
	v_add_f64 v[6:7], v[14:15], v[6:7]
	v_mul_f64 v[14:15], v[163:164], s[4:5]
	s_mov_b32 s41, 0x3fea55e2
	s_mov_b32 s40, s26
	v_add_f64 v[2:3], v[22:23], v[2:3]
	v_add_f64 v[4:5], v[10:11], v[4:5]
	;; [unrolled: 1-line block ×4, first 2 shown]
	v_fma_f64 v[8:9], v[97:98], s[14:15], v[8:9]
	v_fma_f64 v[22:23], v[127:128], s[2:3], v[12:13]
	v_fma_f64 v[20:21], v[113:114], s[14:15], -v[20:21]
	v_fma_f64 v[180:181], v[129:130], s[40:41], v[14:15]
	v_mul_f64 v[182:183], v[167:168], s[26:27]
	v_mul_f64 v[188:189], v[176:177], s[18:19]
	v_fma_f64 v[18:19], v[101:102], s[30:31], v[18:19]
	v_fma_f64 v[184:185], v[103:104], s[30:31], -v[184:185]
	v_add_f64 v[8:9], v[40:41], v[8:9]
	v_add_f64 v[10:11], v[22:23], v[10:11]
	;; [unrolled: 1-line block ×4, first 2 shown]
	v_fma_f64 v[22:23], v[131:132], s[4:5], v[182:183]
	v_fma_f64 v[180:181], v[145:146], s[42:43], v[188:189]
	v_mul_f64 v[194:195], v[178:179], s[22:23]
	v_mul_f64 v[196:197], v[24:25], s[24:25]
	v_add_f64 v[18:19], v[18:19], v[8:9]
	v_fma_f64 v[12:13], v[127:128], s[2:3], -v[12:13]
	v_add_f64 v[20:21], v[184:185], v[20:21]
	v_fma_f64 v[184:185], v[109:110], s[20:21], v[186:187]
	v_fma_f64 v[186:187], v[119:120], s[20:21], -v[190:191]
	v_add_f64 v[10:11], v[22:23], v[10:11]
	v_add_f64 v[8:9], v[180:181], v[16:17]
	v_fma_f64 v[16:17], v[153:154], s[18:19], v[194:195]
	v_fma_f64 v[22:23], v[97:98], s[20:21], -v[196:197]
	v_mul_f64 v[180:181], v[26:27], s[42:43]
	v_mul_f64 v[190:191], v[30:31], s[24:25]
	v_add_f64 v[18:19], v[184:185], v[18:19]
	v_add_f64 v[20:21], v[186:187], v[20:21]
	v_fma_f64 v[184:185], v[117:118], s[2:3], v[192:193]
	v_mul_f64 v[192:193], v[28:29], s[42:43]
	v_add_f64 v[10:11], v[16:17], v[10:11]
	v_add_f64 v[16:17], v[40:41], v[22:23]
	v_fma_f64 v[22:23], v[101:102], s[18:19], -v[180:181]
	v_fma_f64 v[186:187], v[113:114], s[20:21], v[190:191]
	v_mul_f64 v[198:199], v[32:33], s[36:37]
	v_add_f64 v[12:13], v[12:13], v[20:21]
	v_add_f64 v[18:19], v[184:185], v[18:19]
	v_fma_f64 v[14:15], v[129:130], s[26:27], v[14:15]
	v_fma_f64 v[20:21], v[131:132], s[4:5], -v[182:183]
	v_fma_f64 v[182:183], v[103:104], s[18:19], v[192:193]
	v_add_f64 v[16:17], v[22:23], v[16:17]
	v_add_f64 v[22:23], v[42:43], v[186:187]
	v_fma_f64 v[184:185], v[109:110], s[2:3], -v[198:199]
	v_mul_f64 v[186:187], v[34:35], s[36:37]
	v_mul_f64 v[200:201], v[36:37], s[16:17]
	v_add_f64 v[14:15], v[14:15], v[18:19]
	v_add_f64 v[18:19], v[20:21], v[12:13]
	v_fma_f64 v[12:13], v[145:146], s[22:23], v[188:189]
	v_fma_f64 v[20:21], v[153:154], s[18:19], -v[194:195]
	v_add_f64 v[22:23], v[182:183], v[22:23]
	v_add_f64 v[16:17], v[184:185], v[16:17]
	v_fma_f64 v[182:183], v[119:120], s[2:3], v[186:187]
	v_fma_f64 v[184:185], v[117:118], s[14:15], -v[200:201]
	v_mul_f64 v[188:189], v[38:39], s[16:17]
	v_fma_f64 v[194:195], v[97:98], s[20:21], v[196:197]
	v_mul_f64 v[196:197], v[163:164], s[30:31]
	v_fma_f64 v[190:191], v[113:114], s[20:21], -v[190:191]
	s_mov_b32 s43, 0x3fcea1e5
	s_mov_b32 s42, s28
	v_add_f64 v[12:13], v[12:13], v[14:15]
	v_add_f64 v[14:15], v[20:21], v[18:19]
	;; [unrolled: 1-line block ×4, first 2 shown]
	v_fma_f64 v[20:21], v[127:128], s[14:15], v[188:189]
	v_add_f64 v[22:23], v[40:41], v[194:195]
	v_fma_f64 v[180:181], v[101:102], s[18:19], v[180:181]
	v_fma_f64 v[182:183], v[129:130], s[28:29], v[196:197]
	v_add_f64 v[184:185], v[42:43], v[190:191]
	v_fma_f64 v[190:191], v[103:104], s[18:19], -v[192:193]
	v_mul_f64 v[192:193], v[167:168], s[42:43]
	v_mul_f64 v[194:195], v[176:177], s[4:5]
	v_add_f64 v[18:19], v[20:21], v[18:19]
	v_mul_f64 v[202:203], v[32:33], s[26:27]
	v_add_f64 v[22:23], v[180:181], v[22:23]
	v_fma_f64 v[180:181], v[109:110], s[2:3], v[198:199]
	v_add_f64 v[16:17], v[182:183], v[16:17]
	v_add_f64 v[20:21], v[190:191], v[184:185]
	v_fma_f64 v[184:185], v[119:120], s[2:3], -v[186:187]
	v_fma_f64 v[182:183], v[131:132], s[30:31], v[192:193]
	v_fma_f64 v[186:187], v[145:146], s[26:27], v[194:195]
	v_mul_f64 v[190:191], v[178:179], s[40:41]
	v_mul_f64 v[198:199], v[24:25], s[22:23]
	v_add_f64 v[22:23], v[180:181], v[22:23]
	v_fma_f64 v[180:181], v[117:118], s[14:15], v[200:201]
	v_fma_f64 v[192:193], v[131:132], s[30:31], -v[192:193]
	v_add_f64 v[20:21], v[184:185], v[20:21]
	v_fma_f64 v[184:185], v[127:128], s[14:15], -v[188:189]
	v_add_f64 v[18:19], v[182:183], v[18:19]
	v_add_f64 v[16:17], v[186:187], v[16:17]
	v_fma_f64 v[182:183], v[153:154], s[4:5], v[190:191]
	v_mul_f64 v[186:187], v[30:31], s[22:23]
	v_add_f64 v[22:23], v[180:181], v[22:23]
	v_fma_f64 v[180:181], v[97:98], s[18:19], -v[198:199]
	v_mul_f64 v[188:189], v[26:27], s[34:35]
	v_add_f64 v[20:21], v[184:185], v[20:21]
	v_fma_f64 v[184:185], v[129:130], s[42:43], v[196:197]
	v_mul_f64 v[196:197], v[28:29], s[34:35]
	v_add_f64 v[18:19], v[182:183], v[18:19]
	v_fma_f64 v[182:183], v[113:114], s[18:19], v[186:187]
	v_fma_f64 v[198:199], v[97:98], s[18:19], v[198:199]
	v_fma_f64 v[186:187], v[113:114], s[18:19], -v[186:187]
	v_fma_f64 v[200:201], v[101:102], s[14:15], -v[188:189]
	v_fma_f64 v[188:189], v[101:102], s[14:15], v[188:189]
	v_add_f64 v[22:23], v[184:185], v[22:23]
	v_add_f64 v[184:185], v[192:193], v[20:21]
	v_fma_f64 v[20:21], v[145:146], s[40:41], v[194:195]
	v_add_f64 v[182:183], v[42:43], v[182:183]
	v_fma_f64 v[192:193], v[103:104], s[14:15], v[196:197]
	v_mul_f64 v[194:195], v[34:35], s[26:27]
	v_add_f64 v[198:199], v[40:41], v[198:199]
	v_add_f64 v[186:187], v[42:43], v[186:187]
	v_fma_f64 v[196:197], v[103:104], s[14:15], -v[196:197]
	v_mul_f64 v[204:205], v[36:37], s[42:43]
	v_fma_f64 v[190:191], v[153:154], s[4:5], -v[190:191]
	v_mul_f64 v[206:207], v[38:39], s[42:43]
	v_add_f64 v[182:183], v[192:193], v[182:183]
	v_fma_f64 v[192:193], v[119:120], s[4:5], v[194:195]
	v_add_f64 v[188:189], v[188:189], v[198:199]
	v_fma_f64 v[198:199], v[109:110], s[4:5], v[202:203]
	v_add_f64 v[186:187], v[196:197], v[186:187]
	v_fma_f64 v[194:195], v[119:120], s[4:5], -v[194:195]
	v_add_f64 v[180:181], v[40:41], v[180:181]
	v_mul_f64 v[208:209], v[163:164], s[2:3]
	v_mul_f64 v[210:211], v[167:168], s[36:37]
	v_add_f64 v[20:21], v[20:21], v[22:23]
	v_add_f64 v[22:23], v[190:191], v[184:185]
	;; [unrolled: 1-line block ×3, first 2 shown]
	v_fma_f64 v[188:189], v[117:118], s[30:31], v[204:205]
	v_add_f64 v[186:187], v[194:195], v[186:187]
	v_fma_f64 v[190:191], v[127:128], s[30:31], -v[206:207]
	v_mul_f64 v[24:25], v[24:25], s[28:29]
	v_mul_f64 v[30:31], v[30:31], s[28:29]
	v_add_f64 v[180:181], v[200:201], v[180:181]
	v_fma_f64 v[200:201], v[109:110], s[4:5], -v[202:203]
	v_mul_f64 v[26:27], v[26:27], s[36:37]
	v_add_f64 v[184:185], v[188:189], v[184:185]
	v_fma_f64 v[188:189], v[129:130], s[36:37], v[208:209]
	v_add_f64 v[186:187], v[190:191], v[186:187]
	v_fma_f64 v[190:191], v[131:132], s[2:3], -v[210:211]
	v_fma_f64 v[198:199], v[97:98], s[30:31], -v[24:25]
	v_fma_f64 v[202:203], v[113:114], s[30:31], v[30:31]
	v_mul_f64 v[28:29], v[28:29], s[36:37]
	v_fma_f64 v[24:25], v[97:98], s[30:31], v[24:25]
	v_fma_f64 v[30:31], v[113:114], s[30:31], -v[30:31]
	v_add_f64 v[184:185], v[188:189], v[184:185]
	v_mul_f64 v[32:33], v[32:33], s[22:23]
	v_add_f64 v[186:187], v[190:191], v[186:187]
	v_add_f64 v[188:189], v[40:41], v[198:199]
	v_fma_f64 v[190:191], v[101:102], s[2:3], -v[26:27]
	v_add_f64 v[198:199], v[42:43], v[202:203]
	v_fma_f64 v[202:203], v[103:104], s[2:3], v[28:29]
	v_mul_f64 v[34:35], v[34:35], s[22:23]
	v_add_f64 v[24:25], v[40:41], v[24:25]
	v_fma_f64 v[26:27], v[101:102], s[2:3], v[26:27]
	v_add_f64 v[30:31], v[42:43], v[30:31]
	v_fma_f64 v[28:29], v[103:104], s[2:3], -v[28:29]
	v_add_f64 v[180:181], v[200:201], v[180:181]
	v_fma_f64 v[200:201], v[117:118], s[30:31], -v[204:205]
	v_add_f64 v[182:183], v[192:193], v[182:183]
	v_fma_f64 v[192:193], v[127:128], s[30:31], v[206:207]
	v_add_f64 v[188:189], v[190:191], v[188:189]
	v_add_f64 v[190:191], v[202:203], v[198:199]
	v_fma_f64 v[198:199], v[109:110], s[18:19], -v[32:33]
	v_fma_f64 v[202:203], v[119:120], s[18:19], v[34:35]
	v_mul_f64 v[36:37], v[36:37], s[40:41]
	v_mul_f64 v[38:39], v[38:39], s[40:41]
	v_add_f64 v[24:25], v[26:27], v[24:25]
	v_add_f64 v[26:27], v[28:29], v[30:31]
	v_fma_f64 v[28:29], v[109:110], s[18:19], v[32:33]
	v_fma_f64 v[30:31], v[119:120], s[18:19], -v[34:35]
	v_add_f64 v[180:181], v[200:201], v[180:181]
	v_add_f64 v[182:183], v[192:193], v[182:183]
	v_fma_f64 v[192:193], v[129:130], s[10:11], v[208:209]
	v_add_f64 v[32:33], v[198:199], v[188:189]
	v_add_f64 v[34:35], v[202:203], v[190:191]
	v_fma_f64 v[188:189], v[117:118], s[4:5], -v[36:37]
	v_fma_f64 v[190:191], v[127:128], s[4:5], v[38:39]
	v_mul_f64 v[163:164], v[163:164], s[20:21]
	v_mul_f64 v[167:168], v[167:168], s[24:25]
	v_add_f64 v[24:25], v[28:29], v[24:25]
	v_add_f64 v[26:27], v[30:31], v[26:27]
	v_fma_f64 v[28:29], v[117:118], s[4:5], v[36:37]
	v_fma_f64 v[30:31], v[127:128], s[4:5], -v[38:39]
	v_fma_f64 v[196:197], v[131:132], s[2:3], v[210:211]
	v_add_f64 v[180:181], v[192:193], v[180:181]
	v_mul_f64 v[192:193], v[176:177], s[20:21]
	v_mul_f64 v[194:195], v[178:179], s[24:25]
	v_add_f64 v[32:33], v[188:189], v[32:33]
	v_add_f64 v[34:35], v[190:191], v[34:35]
	v_fma_f64 v[36:37], v[129:130], s[38:39], v[163:164]
	v_fma_f64 v[38:39], v[131:132], s[20:21], v[167:168]
	v_mul_f64 v[176:177], v[176:177], s[14:15]
	v_mul_f64 v[178:179], v[178:179], s[34:35]
	v_add_f64 v[24:25], v[28:29], v[24:25]
	v_add_f64 v[26:27], v[30:31], v[26:27]
	v_fma_f64 v[28:29], v[129:130], s[24:25], v[163:164]
	v_fma_f64 v[30:31], v[131:132], s[20:21], -v[167:168]
	v_add_f64 v[182:183], v[196:197], v[182:183]
	v_fma_f64 v[196:197], v[145:146], s[38:39], v[192:193]
	v_fma_f64 v[200:201], v[153:154], s[20:21], v[194:195]
	;; [unrolled: 1-line block ×3, first 2 shown]
	v_fma_f64 v[167:168], v[153:154], s[20:21], -v[194:195]
	v_add_f64 v[36:37], v[36:37], v[32:33]
	v_add_f64 v[38:39], v[38:39], v[34:35]
	v_fma_f64 v[188:189], v[145:146], s[16:17], v[176:177]
	v_fma_f64 v[190:191], v[153:154], s[14:15], v[178:179]
	v_add_f64 v[192:193], v[28:29], v[24:25]
	v_add_f64 v[194:195], v[30:31], v[26:27]
	v_fma_f64 v[176:177], v[145:146], s[34:35], v[176:177]
	v_fma_f64 v[178:179], v[153:154], s[14:15], -v[178:179]
	v_add_f64 v[24:25], v[196:197], v[180:181]
	v_add_f64 v[26:27], v[200:201], v[182:183]
	;; [unrolled: 1-line block ×8, first 2 shown]
	v_mul_lo_u16_e32 v163, 13, v172
	s_barrier
	s_and_saveexec_b64 s[10:11], vcc
	s_cbranch_execz .LBB0_7
; %bb.6:
	v_add_f64 v[46:47], v[46:47], v[42:43]
	v_add_f64 v[44:45], v[44:45], v[40:41]
	v_mul_f64 v[167:168], v[113:114], s[4:5]
	v_mul_f64 v[176:177], v[97:98], s[2:3]
	;; [unrolled: 1-line block ×6, first 2 shown]
	v_add_f64 v[46:47], v[50:51], v[46:47]
	v_add_f64 v[44:45], v[48:49], v[44:45]
	;; [unrolled: 1-line block ×3, first 2 shown]
	v_mul_f64 v[103:104], v[103:104], s[4:5]
	v_add_f64 v[99:100], v[99:100], v[113:114]
	v_add_f64 v[93:94], v[176:177], -v[93:94]
	v_mul_f64 v[101:102], v[101:102], s[20:21]
	v_mul_f64 v[182:183], v[119:120], s[30:31]
	v_add_f64 v[46:47], v[54:55], v[46:47]
	v_add_f64 v[44:45], v[52:53], v[44:45]
	;; [unrolled: 1-line block ×4, first 2 shown]
	v_mul_f64 v[167:168], v[109:110], s[14:15]
	v_mul_f64 v[50:51], v[119:120], s[14:15]
	v_add_f64 v[42:43], v[42:43], v[99:100]
	v_add_f64 v[95:96], v[178:179], -v[95:96]
	v_add_f64 v[46:47], v[58:59], v[46:47]
	v_add_f64 v[44:45], v[56:57], v[44:45]
	v_mul_f64 v[109:110], v[109:110], s[30:31]
	v_mul_f64 v[149:150], v[127:128], s[18:19]
	v_add_f64 v[155:156], v[155:156], v[182:183]
	v_add_f64 v[48:49], v[151:152], v[48:49]
	v_mul_f64 v[119:120], v[117:118], s[20:21]
	v_mul_f64 v[52:53], v[127:128], s[20:21]
	v_add_f64 v[46:47], v[62:63], v[46:47]
	v_add_f64 v[44:45], v[60:61], v[44:45]
	;; [unrolled: 1-line block ×3, first 2 shown]
	v_mul_f64 v[54:55], v[117:118], s[18:19]
	v_mul_f64 v[127:128], v[131:132], s[14:15]
	v_add_f64 v[149:150], v[157:158], v[149:150]
	v_add_f64 v[48:49], v[155:156], v[48:49]
	v_mul_f64 v[117:118], v[129:130], s[22:23]
	v_add_f64 v[46:47], v[66:67], v[46:47]
	v_add_f64 v[44:45], v[64:65], v[44:45]
	v_add_f64 v[64:65], v[97:98], -v[135:136]
	v_add_f64 v[97:98], v[107:108], v[103:104]
	v_add_f64 v[66:67], v[101:102], -v[137:138]
	v_mul_f64 v[56:57], v[131:132], s[18:19]
	v_add_f64 v[52:53], v[121:122], v[52:53]
	v_mul_f64 v[58:59], v[129:130], s[34:35]
	v_add_f64 v[46:47], v[70:71], v[46:47]
	v_add_f64 v[44:45], v[68:69], v[44:45]
	;; [unrolled: 1-line block ×5, first 2 shown]
	v_add_f64 v[70:71], v[167:168], -v[105:106]
	v_add_f64 v[64:65], v[109:110], -v[141:142]
	;; [unrolled: 1-line block ×3, first 2 shown]
	v_add_f64 v[46:47], v[74:75], v[46:47]
	v_add_f64 v[44:45], v[72:73], v[44:45]
	;; [unrolled: 1-line block ×5, first 2 shown]
	v_add_f64 v[50:51], v[119:120], -v[111:112]
	v_mul_f64 v[129:130], v[153:154], s[2:3]
	v_add_f64 v[127:128], v[127:128], v[161:162]
	v_add_f64 v[46:47], v[78:79], v[46:47]
	;; [unrolled: 1-line block ×6, first 2 shown]
	v_mul_f64 v[131:132], v[145:146], s[28:29]
	v_mul_f64 v[60:61], v[153:154], s[30:31]
	;; [unrolled: 1-line block ×3, first 2 shown]
	v_add_f64 v[46:47], v[82:83], v[46:47]
	v_add_f64 v[44:45], v[80:81], v[44:45]
	;; [unrolled: 1-line block ×4, first 2 shown]
	v_add_f64 v[52:53], v[123:124], -v[117:118]
	v_add_f64 v[50:51], v[50:51], v[66:67]
	v_add_f64 v[58:59], v[147:148], -v[58:59]
	v_add_f64 v[40:41], v[54:55], v[40:41]
	v_add_f64 v[129:130], v[129:130], v[165:166]
	;; [unrolled: 1-line block ×5, first 2 shown]
	v_add_f64 v[54:55], v[159:160], -v[62:63]
	v_add_f64 v[60:61], v[60:61], v[139:140]
	v_add_f64 v[56:57], v[56:57], v[42:43]
	v_add_f64 v[62:63], v[133:134], -v[131:132]
	v_add_f64 v[52:53], v[52:53], v[50:51]
	v_add_f64 v[40:41], v[58:59], v[40:41]
	;; [unrolled: 1-line block ×8, first 2 shown]
	v_add_lshl_u32 v52, v174, v163, 4
	ds_write_b128 v52, v[48:51]
	ds_write_b128 v52, v[44:47] offset:16
	ds_write_b128 v52, v[40:43] offset:32
	;; [unrolled: 1-line block ×12, first 2 shown]
.LBB0_7:
	s_or_b64 exec, exec, s[10:11]
	v_lshlrev_b32_e32 v48, 5, v172
	s_load_dwordx4 s[0:3], s[0:1], 0x0
	s_waitcnt lgkmcnt(0)
	s_barrier
	global_load_dwordx4 v[44:47], v48, s[8:9]
	global_load_dwordx4 v[40:43], v48, s[8:9] offset:16
	v_add_lshl_u32 v122, v174, v172, 4
	ds_read_b128 v[48:51], v122 offset:208
	ds_read_b128 v[52:55], v122 offset:416
	s_mov_b32 s4, 0xe8584caa
	s_mov_b32 s5, 0x3febb67a
	s_mov_b32 s9, 0xbfebb67a
	s_mov_b32 s8, s4
	v_lshl_add_u32 v121, v172, 4, v175
	s_waitcnt vmcnt(1) lgkmcnt(1)
	v_mul_f64 v[56:57], v[50:51], v[46:47]
	v_mul_f64 v[58:59], v[48:49], v[46:47]
	s_waitcnt vmcnt(0) lgkmcnt(0)
	v_mul_f64 v[60:61], v[54:55], v[42:43]
	v_mul_f64 v[62:63], v[52:53], v[42:43]
	v_fma_f64 v[56:57], v[48:49], v[44:45], -v[56:57]
	v_fma_f64 v[58:59], v[50:51], v[44:45], v[58:59]
	v_fma_f64 v[52:53], v[52:53], v[40:41], -v[60:61]
	v_fma_f64 v[54:55], v[54:55], v[40:41], v[62:63]
	ds_read_b128 v[48:51], v122
	s_waitcnt lgkmcnt(0)
	v_add_f64 v[64:65], v[48:49], v[56:57]
	v_add_f64 v[60:61], v[56:57], v[52:53]
	;; [unrolled: 1-line block ×3, first 2 shown]
	v_add_f64 v[66:67], v[58:59], -v[54:55]
	v_add_f64 v[58:59], v[50:51], v[58:59]
	v_add_f64 v[68:69], v[56:57], -v[52:53]
	v_fma_f64 v[60:61], v[60:61], -0.5, v[48:49]
	v_fma_f64 v[62:63], v[62:63], -0.5, v[50:51]
	v_add_f64 v[48:49], v[64:65], v[52:53]
	v_add_f64 v[50:51], v[58:59], v[54:55]
	v_fma_f64 v[56:57], v[66:67], s[4:5], v[60:61]
	v_fma_f64 v[52:53], v[66:67], s[8:9], v[60:61]
	;; [unrolled: 1-line block ×4, first 2 shown]
	ds_write_b128 v121, v[48:51]
	ds_write_b128 v121, v[56:59] offset:208
	ds_write_b128 v121, v[52:55] offset:416
	s_waitcnt lgkmcnt(0)
	s_barrier
	s_and_saveexec_b64 s[4:5], vcc
	s_cbranch_execz .LBB0_9
; %bb.8:
	global_load_dwordx4 v[60:63], v171, s[6:7] offset:624
	s_add_u32 s8, s6, 0x270
	s_addc_u32 s9, s7, 0
	global_load_dwordx4 v[64:67], v171, s[8:9] offset:48
	global_load_dwordx4 v[68:71], v171, s[8:9] offset:96
	;; [unrolled: 1-line block ×12, first 2 shown]
	ds_read_b128 v[113:116], v121
	ds_read_b128 v[117:120], v121 offset:48
	ds_read_b128 v[123:126], v121 offset:96
	;; [unrolled: 1-line block ×12, first 2 shown]
	s_waitcnt vmcnt(11) lgkmcnt(11)
	v_mul_f64 v[178:179], v[119:120], v[66:67]
	v_mul_f64 v[66:67], v[117:118], v[66:67]
	s_waitcnt vmcnt(10) lgkmcnt(10)
	v_mul_f64 v[180:181], v[125:126], v[70:71]
	v_mul_f64 v[70:71], v[123:124], v[70:71]
	;; [unrolled: 3-line block ×4, first 2 shown]
	v_mul_f64 v[176:177], v[115:116], v[62:63]
	v_mul_f64 v[62:63], v[113:114], v[62:63]
	s_waitcnt vmcnt(7) lgkmcnt(7)
	v_mul_f64 v[186:187], v[137:138], v[82:83]
	v_mul_f64 v[82:83], v[135:136], v[82:83]
	s_waitcnt vmcnt(6) lgkmcnt(6)
	;; [unrolled: 3-line block ×8, first 2 shown]
	v_mul_f64 v[200:201], v[166:167], v[111:112]
	v_mul_f64 v[202:203], v[164:165], v[111:112]
	v_fma_f64 v[111:112], v[113:114], v[60:61], -v[176:177]
	v_fma_f64 v[113:114], v[115:116], v[60:61], v[62:63]
	v_fma_f64 v[60:61], v[117:118], v[64:65], -v[178:179]
	v_fma_f64 v[62:63], v[119:120], v[64:65], v[66:67]
	v_fma_f64 v[64:65], v[123:124], v[68:69], -v[180:181]
	v_fma_f64 v[66:67], v[125:126], v[68:69], v[70:71]
	v_fma_f64 v[68:69], v[127:128], v[72:73], -v[182:183]
	v_fma_f64 v[70:71], v[129:130], v[72:73], v[74:75]
	v_fma_f64 v[72:73], v[131:132], v[76:77], -v[184:185]
	v_fma_f64 v[74:75], v[133:134], v[76:77], v[78:79]
	v_fma_f64 v[76:77], v[135:136], v[80:81], -v[186:187]
	v_fma_f64 v[78:79], v[137:138], v[80:81], v[82:83]
	v_fma_f64 v[80:81], v[139:140], v[84:85], -v[188:189]
	v_fma_f64 v[82:83], v[141:142], v[84:85], v[86:87]
	v_fma_f64 v[84:85], v[143:144], v[88:89], -v[190:191]
	v_fma_f64 v[86:87], v[145:146], v[88:89], v[90:91]
	v_fma_f64 v[88:89], v[147:148], v[93:94], -v[192:193]
	v_fma_f64 v[90:91], v[149:150], v[93:94], v[95:96]
	v_fma_f64 v[93:94], v[151:152], v[97:98], -v[194:195]
	v_fma_f64 v[95:96], v[153:154], v[97:98], v[99:100]
	v_fma_f64 v[97:98], v[155:156], v[101:102], -v[196:197]
	v_fma_f64 v[99:100], v[157:158], v[101:102], v[103:104]
	v_fma_f64 v[101:102], v[159:160], v[105:106], -v[198:199]
	v_fma_f64 v[103:104], v[161:162], v[105:106], v[107:108]
	v_fma_f64 v[105:106], v[164:165], v[109:110], -v[200:201]
	v_fma_f64 v[107:108], v[166:167], v[109:110], v[202:203]
	ds_write_b128 v121, v[111:114]
	ds_write_b128 v121, v[60:63] offset:48
	ds_write_b128 v121, v[64:67] offset:96
	ds_write_b128 v121, v[68:71] offset:144
	ds_write_b128 v121, v[72:75] offset:192
	ds_write_b128 v121, v[76:79] offset:240
	ds_write_b128 v121, v[80:83] offset:288
	ds_write_b128 v121, v[84:87] offset:336
	ds_write_b128 v121, v[88:91] offset:384
	ds_write_b128 v121, v[93:96] offset:432
	ds_write_b128 v121, v[97:100] offset:480
	ds_write_b128 v121, v[101:104] offset:528
	ds_write_b128 v121, v[105:108] offset:576
.LBB0_9:
	s_or_b64 exec, exec, s[4:5]
	s_waitcnt lgkmcnt(0)
	s_barrier
	s_and_saveexec_b64 s[4:5], vcc
	s_cbranch_execz .LBB0_11
; %bb.10:
	ds_read_b128 v[48:51], v121
	ds_read_b128 v[56:59], v121 offset:48
	ds_read_b128 v[52:55], v121 offset:96
	;; [unrolled: 1-line block ×12, first 2 shown]
.LBB0_11:
	s_or_b64 exec, exec, s[4:5]
	s_waitcnt lgkmcnt(0)
	s_barrier
	s_and_saveexec_b64 s[4:5], vcc
	s_cbranch_execz .LBB0_13
; %bb.12:
	v_add_f64 v[119:120], v[56:57], -v[0:1]
	s_mov_b32 s18, 0x4bc48dbf
	s_mov_b32 s19, 0xbfcea1e5
	v_add_f64 v[117:118], v[52:53], -v[4:5]
	v_add_f64 v[88:89], v[58:59], v[2:3]
	v_add_f64 v[105:106], v[58:59], -v[2:3]
	s_mov_b32 s24, 0x4267c47c
	s_mov_b32 s22, 0x93053d00
	v_mul_f64 v[101:102], v[119:120], s[18:19]
	s_mov_b32 s25, 0x3fddbe06
	s_mov_b32 s23, 0xbfef11f4
	v_add_f64 v[84:85], v[8:9], -v[12:13]
	v_mul_f64 v[109:110], v[117:118], s[24:25]
	v_add_f64 v[86:87], v[54:55], v[6:7]
	v_add_f64 v[103:104], v[54:55], -v[6:7]
	v_add_f64 v[99:100], v[56:57], v[0:1]
	v_fma_f64 v[93:94], v[88:89], s[22:23], v[101:102]
	v_mul_f64 v[123:124], v[105:106], s[18:19]
	s_mov_b32 s20, 0x24c2f84
	s_mov_b32 s28, 0xe00740e9
	;; [unrolled: 1-line block ×4, first 2 shown]
	v_add_f64 v[80:81], v[16:17], -v[20:21]
	v_mul_f64 v[70:71], v[84:85], s[20:21]
	v_add_f64 v[90:91], v[10:11], v[14:15]
	v_fma_f64 v[95:96], v[86:87], s[28:29], v[109:110]
	v_add_f64 v[93:94], v[50:51], v[93:94]
	v_add_f64 v[107:108], v[10:11], -v[14:15]
	v_add_f64 v[97:98], v[52:53], v[4:5]
	v_mul_f64 v[125:126], v[103:104], s[24:25]
	v_fma_f64 v[115:116], v[99:100], s[22:23], -v[123:124]
	s_mov_b32 s42, 0x42a4c3d2
	s_mov_b32 s26, 0xd0032e0c
	;; [unrolled: 1-line block ×4, first 2 shown]
	v_add_f64 v[78:79], v[24:25], -v[32:33]
	v_mul_f64 v[68:69], v[80:81], s[42:43]
	v_add_f64 v[82:83], v[18:19], v[22:23]
	v_fma_f64 v[113:114], v[90:91], s[26:27], v[70:71]
	v_add_f64 v[93:94], v[95:96], v[93:94]
	v_add_f64 v[111:112], v[18:19], -v[22:23]
	v_add_f64 v[95:96], v[8:9], v[12:13]
	v_mul_f64 v[127:128], v[107:108], s[20:21]
	v_fma_f64 v[129:130], v[97:98], s[28:29], -v[125:126]
	v_add_f64 v[115:116], v[48:49], v[115:116]
	v_fma_f64 v[101:102], v[88:89], s[22:23], -v[101:102]
	s_mov_b32 s14, 0x2ef20147
	s_mov_b32 s30, 0x1ea71119
	;; [unrolled: 1-line block ×4, first 2 shown]
	v_add_f64 v[76:77], v[28:29], -v[36:37]
	v_add_f64 v[74:75], v[34:35], v[26:27]
	v_mul_f64 v[60:61], v[78:79], s[14:15]
	v_fma_f64 v[131:132], v[82:83], s[30:31], v[68:69]
	v_add_f64 v[133:134], v[113:114], v[93:94]
	v_add_f64 v[113:114], v[32:33], v[24:25]
	;; [unrolled: 1-line block ×3, first 2 shown]
	v_mul_f64 v[135:136], v[111:112], s[42:43]
	v_fma_f64 v[137:138], v[95:96], s[26:27], -v[127:128]
	v_add_f64 v[129:130], v[129:130], v[115:116]
	v_fma_f64 v[139:140], v[86:87], s[28:29], -v[109:110]
	v_add_f64 v[141:142], v[50:51], v[101:102]
	s_mov_b32 s16, 0x66966769
	s_mov_b32 s10, 0xb2365da1
	;; [unrolled: 1-line block ×4, first 2 shown]
	v_add_f64 v[72:73], v[38:39], v[30:31]
	v_mul_f64 v[64:65], v[76:77], s[16:17]
	v_fma_f64 v[66:67], v[74:75], s[10:11], v[60:61]
	v_add_f64 v[115:116], v[36:37], v[28:29]
	v_add_f64 v[131:132], v[131:132], v[133:134]
	v_mul_f64 v[133:134], v[113:114], s[10:11]
	v_add_f64 v[109:110], v[26:27], -v[34:35]
	v_fma_f64 v[143:144], v[93:94], s[30:31], -v[135:136]
	v_add_f64 v[129:130], v[137:138], v[129:130]
	v_fma_f64 v[70:71], v[90:91], s[26:27], -v[70:71]
	v_add_f64 v[139:140], v[139:140], v[141:142]
	s_mov_b32 s8, 0xebaa3ed8
	s_mov_b32 s9, 0x3fbedb7d
	;; [unrolled: 1-line block ×4, first 2 shown]
	v_fma_f64 v[62:63], v[72:73], s[8:9], v[64:65]
	v_mul_f64 v[137:138], v[115:116], s[8:9]
	v_add_f64 v[101:102], v[30:31], -v[38:39]
	v_fma_f64 v[141:142], v[109:110], s[46:47], v[133:134]
	v_add_f64 v[129:130], v[143:144], v[129:130]
	v_add_f64 v[66:67], v[66:67], v[131:132]
	v_fma_f64 v[68:69], v[82:83], s[30:31], -v[68:69]
	v_fma_f64 v[123:124], v[99:100], s[22:23], v[123:124]
	v_add_f64 v[70:71], v[70:71], v[139:140]
	s_mov_b32 s35, 0xbfefc445
	s_mov_b32 s34, s16
	v_fma_f64 v[131:132], v[101:102], s[34:35], v[137:138]
	v_add_f64 v[129:130], v[141:142], v[129:130]
	v_fma_f64 v[139:140], v[74:75], s[10:11], -v[60:61]
	v_fma_f64 v[125:126], v[97:98], s[28:29], v[125:126]
	v_add_f64 v[123:124], v[48:49], v[123:124]
	v_add_f64 v[68:69], v[68:69], v[70:71]
	;; [unrolled: 1-line block ×3, first 2 shown]
	v_fma_f64 v[66:67], v[95:96], s[26:27], v[127:128]
	v_mul_f64 v[70:71], v[119:120], s[20:21]
	v_fma_f64 v[127:128], v[109:110], s[14:15], v[133:134]
	v_mul_f64 v[133:134], v[105:106], s[20:21]
	v_add_f64 v[60:61], v[131:132], v[129:130]
	v_add_f64 v[123:124], v[125:126], v[123:124]
	v_add_f64 v[68:69], v[139:140], v[68:69]
	v_mul_f64 v[129:130], v[117:118], s[16:17]
	v_fma_f64 v[131:132], v[93:94], s[30:31], v[135:136]
	v_fma_f64 v[135:136], v[88:89], s[26:27], v[70:71]
	v_mul_f64 v[139:140], v[103:104], s[16:17]
	v_fma_f64 v[141:142], v[99:100], s[26:27], -v[133:134]
	s_mov_b32 s39, 0xbfea55e2
	s_mov_b32 s38, s42
	v_fma_f64 v[125:126], v[101:102], s[16:17], v[137:138]
	v_add_f64 v[66:67], v[66:67], v[123:124]
	v_mul_f64 v[123:124], v[84:85], s[38:39]
	v_fma_f64 v[137:138], v[86:87], s[8:9], v[129:130]
	v_add_f64 v[135:136], v[50:51], v[135:136]
	v_mul_f64 v[147:148], v[107:108], s[38:39]
	v_fma_f64 v[149:150], v[97:98], s[8:9], -v[139:140]
	v_add_f64 v[141:142], v[48:49], v[141:142]
	s_mov_b32 s37, 0x3fcea1e5
	s_mov_b32 s36, s18
	v_mul_f64 v[143:144], v[80:81], s[36:37]
	v_fma_f64 v[145:146], v[90:91], s[30:31], v[123:124]
	v_add_f64 v[135:136], v[137:138], v[135:136]
	v_fma_f64 v[70:71], v[88:89], s[26:27], -v[70:71]
	v_mul_f64 v[151:152], v[111:112], s[36:37]
	v_fma_f64 v[153:154], v[95:96], s[30:31], -v[147:148]
	v_add_f64 v[141:142], v[149:150], v[141:142]
	v_add_f64 v[66:67], v[131:132], v[66:67]
	v_mul_f64 v[131:132], v[78:79], s[24:25]
	v_fma_f64 v[137:138], v[82:83], s[22:23], v[143:144]
	v_add_f64 v[135:136], v[145:146], v[135:136]
	v_fma_f64 v[129:130], v[86:87], s[8:9], -v[129:130]
	v_add_f64 v[70:71], v[50:51], v[70:71]
	v_mul_f64 v[155:156], v[113:114], s[28:29]
	v_fma_f64 v[157:158], v[93:94], s[22:23], -v[151:152]
	v_add_f64 v[141:142], v[153:154], v[141:142]
	s_mov_b32 s41, 0xbfddbe06
	s_mov_b32 s40, s24
	v_mul_f64 v[145:146], v[76:77], s[14:15]
	v_fma_f64 v[149:150], v[74:75], s[28:29], v[131:132]
	v_add_f64 v[135:136], v[137:138], v[135:136]
	v_mul_f64 v[137:138], v[115:116], s[10:11]
	v_fma_f64 v[123:124], v[90:91], s[30:31], -v[123:124]
	v_add_f64 v[70:71], v[129:130], v[70:71]
	v_fma_f64 v[129:130], v[109:110], s[40:41], v[155:156]
	v_add_f64 v[141:142], v[157:158], v[141:142]
	v_fma_f64 v[133:134], v[99:100], s[26:27], v[133:134]
	v_fma_f64 v[64:65], v[72:73], s[8:9], -v[64:65]
	v_add_f64 v[66:67], v[127:128], v[66:67]
	v_fma_f64 v[127:128], v[72:73], s[10:11], v[145:146]
	v_fma_f64 v[143:144], v[82:83], s[22:23], -v[143:144]
	v_add_f64 v[123:124], v[123:124], v[70:71]
	v_add_f64 v[135:136], v[149:150], v[135:136]
	v_fma_f64 v[149:150], v[101:102], s[46:47], v[137:138]
	v_add_f64 v[129:130], v[129:130], v[141:142]
	v_fma_f64 v[139:140], v[97:98], s[8:9], v[139:140]
	v_add_f64 v[133:134], v[48:49], v[133:134]
	v_add_f64 v[70:71], v[64:65], v[68:69]
	v_fma_f64 v[131:132], v[74:75], s[28:29], -v[131:132]
	v_add_f64 v[123:124], v[143:144], v[123:124]
	v_add_f64 v[68:69], v[125:126], v[66:67]
	;; [unrolled: 1-line block ×4, first 2 shown]
	v_fma_f64 v[127:128], v[95:96], s[30:31], v[147:148]
	v_mul_f64 v[129:130], v[119:120], s[14:15]
	v_add_f64 v[133:134], v[139:140], v[133:134]
	v_mul_f64 v[135:136], v[105:106], s[14:15]
	s_mov_b32 s45, 0x3fe5384d
	s_mov_b32 s44, s20
	v_add_f64 v[123:124], v[131:132], v[123:124]
	v_fma_f64 v[131:132], v[93:94], s[22:23], v[151:152]
	v_mul_f64 v[139:140], v[117:118], s[44:45]
	v_fma_f64 v[141:142], v[88:89], s[10:11], v[129:130]
	v_add_f64 v[127:128], v[127:128], v[133:134]
	v_fma_f64 v[133:134], v[101:102], s[14:15], v[137:138]
	v_mul_f64 v[137:138], v[103:104], s[44:45]
	v_fma_f64 v[143:144], v[99:100], s[10:11], -v[135:136]
	v_mul_f64 v[147:148], v[84:85], s[24:25]
	v_fma_f64 v[129:130], v[88:89], s[10:11], -v[129:130]
	v_fma_f64 v[149:150], v[86:87], s[26:27], v[139:140]
	v_add_f64 v[141:142], v[50:51], v[141:142]
	v_add_f64 v[127:128], v[131:132], v[127:128]
	v_mul_f64 v[131:132], v[107:108], s[24:25]
	v_fma_f64 v[151:152], v[97:98], s[26:27], -v[137:138]
	v_add_f64 v[143:144], v[48:49], v[143:144]
	v_fma_f64 v[125:126], v[72:73], s[10:11], -v[145:146]
	v_fma_f64 v[145:146], v[109:110], s[24:25], v[155:156]
	v_mul_f64 v[153:154], v[80:81], s[34:35]
	v_fma_f64 v[155:156], v[90:91], s[28:29], v[147:148]
	v_add_f64 v[141:142], v[149:150], v[141:142]
	v_mul_f64 v[157:158], v[111:112], s[34:35]
	v_fma_f64 v[159:160], v[95:96], s[28:29], -v[131:132]
	v_add_f64 v[143:144], v[151:152], v[143:144]
	v_fma_f64 v[139:140], v[86:87], s[26:27], -v[139:140]
	v_add_f64 v[129:130], v[50:51], v[129:130]
	v_mul_f64 v[149:150], v[78:79], s[36:37]
	v_fma_f64 v[151:152], v[82:83], s[8:9], v[153:154]
	v_add_f64 v[141:142], v[155:156], v[141:142]
	v_mul_f64 v[161:162], v[113:114], s[22:23]
	v_fma_f64 v[164:165], v[93:94], s[8:9], -v[157:158]
	v_add_f64 v[143:144], v[159:160], v[143:144]
	v_fma_f64 v[147:148], v[90:91], s[28:29], -v[147:148]
	v_add_f64 v[129:130], v[139:140], v[129:130]
	v_mul_f64 v[155:156], v[76:77], s[42:43]
	v_fma_f64 v[139:140], v[74:75], s[22:23], v[149:150]
	v_add_f64 v[141:142], v[151:152], v[141:142]
	v_add_f64 v[127:128], v[145:146], v[127:128]
	v_mul_f64 v[145:146], v[115:116], s[30:31]
	v_fma_f64 v[151:152], v[109:110], s[18:19], v[161:162]
	v_add_f64 v[143:144], v[164:165], v[143:144]
	v_fma_f64 v[153:154], v[82:83], s[8:9], -v[153:154]
	v_add_f64 v[129:130], v[147:148], v[129:130]
	v_fma_f64 v[147:148], v[72:73], s[30:31], v[155:156]
	v_add_f64 v[139:140], v[139:140], v[141:142]
	v_add_f64 v[125:126], v[125:126], v[123:124]
	v_fma_f64 v[141:142], v[101:102], s[38:39], v[145:146]
	v_fma_f64 v[135:136], v[99:100], s[10:11], v[135:136]
	v_add_f64 v[143:144], v[151:152], v[143:144]
	v_fma_f64 v[149:150], v[74:75], s[22:23], -v[149:150]
	v_add_f64 v[151:152], v[153:154], v[129:130]
	v_add_f64 v[123:124], v[133:134], v[127:128]
	v_fma_f64 v[133:134], v[97:98], s[26:27], v[137:138]
	v_mul_f64 v[137:138], v[119:120], s[34:35]
	v_add_f64 v[129:130], v[147:148], v[139:140]
	v_add_f64 v[135:136], v[48:49], v[135:136]
	;; [unrolled: 1-line block ×3, first 2 shown]
	v_mul_f64 v[143:144], v[105:106], s[34:35]
	v_add_f64 v[141:142], v[149:150], v[151:152]
	v_mul_f64 v[147:148], v[117:118], s[18:19]
	v_fma_f64 v[139:140], v[72:73], s[30:31], -v[155:156]
	v_fma_f64 v[149:150], v[88:89], s[8:9], v[137:138]
	v_fma_f64 v[131:132], v[95:96], s[28:29], v[131:132]
	v_add_f64 v[133:134], v[133:134], v[135:136]
	v_fma_f64 v[135:136], v[101:102], s[42:43], v[145:146]
	v_fma_f64 v[145:146], v[93:94], s[8:9], v[157:158]
	v_mul_f64 v[151:152], v[84:85], s[46:47]
	v_mul_f64 v[153:154], v[103:104], s[18:19]
	v_fma_f64 v[155:156], v[99:100], s[8:9], -v[143:144]
	v_fma_f64 v[157:158], v[86:87], s[22:23], v[147:148]
	v_add_f64 v[149:150], v[50:51], v[149:150]
	v_add_f64 v[131:132], v[131:132], v[133:134]
	v_fma_f64 v[133:134], v[109:110], s[36:37], v[161:162]
	v_mul_f64 v[159:160], v[80:81], s[24:25]
	v_mul_f64 v[161:162], v[107:108], s[46:47]
	v_fma_f64 v[164:165], v[97:98], s[22:23], -v[153:154]
	v_add_f64 v[155:156], v[48:49], v[155:156]
	v_fma_f64 v[166:167], v[90:91], s[10:11], v[151:152]
	v_add_f64 v[149:150], v[157:158], v[149:150]
	v_add_f64 v[131:132], v[145:146], v[131:132]
	v_mul_f64 v[145:146], v[78:79], s[38:39]
	v_mul_f64 v[157:158], v[111:112], s[24:25]
	v_fma_f64 v[176:177], v[95:96], s[10:11], -v[161:162]
	v_fma_f64 v[137:138], v[88:89], s[8:9], -v[137:138]
	v_add_f64 v[155:156], v[164:165], v[155:156]
	v_fma_f64 v[164:165], v[82:83], s[28:29], v[159:160]
	v_add_f64 v[149:150], v[166:167], v[149:150]
	v_mul_f64 v[166:167], v[76:77], s[20:21]
	v_mul_f64 v[178:179], v[113:114], s[30:31]
	v_fma_f64 v[180:181], v[93:94], s[28:29], -v[157:158]
	v_fma_f64 v[147:148], v[86:87], s[22:23], -v[147:148]
	v_add_f64 v[137:138], v[50:51], v[137:138]
	v_add_f64 v[155:156], v[176:177], v[155:156]
	v_fma_f64 v[176:177], v[74:75], s[30:31], v[145:146]
	v_add_f64 v[149:150], v[164:165], v[149:150]
	v_add_f64 v[58:59], v[58:59], v[50:51]
	;; [unrolled: 1-line block ×3, first 2 shown]
	v_mul_f64 v[164:165], v[115:116], s[26:27]
	v_fma_f64 v[182:183], v[109:110], s[42:43], v[178:179]
	v_fma_f64 v[151:152], v[90:91], s[10:11], -v[151:152]
	v_add_f64 v[137:138], v[147:148], v[137:138]
	v_add_f64 v[147:148], v[180:181], v[155:156]
	v_fma_f64 v[155:156], v[72:73], s[26:27], v[166:167]
	v_add_f64 v[149:150], v[176:177], v[149:150]
	v_add_f64 v[54:55], v[54:55], v[58:59]
	;; [unrolled: 1-line block ×5, first 2 shown]
	v_fma_f64 v[139:140], v[101:102], s[44:45], v[164:165]
	v_fma_f64 v[141:142], v[82:83], s[28:29], -v[159:160]
	v_fma_f64 v[143:144], v[99:100], s[8:9], v[143:144]
	v_add_f64 v[151:152], v[151:152], v[137:138]
	v_add_f64 v[147:148], v[182:183], v[147:148]
	;; [unrolled: 1-line block ×3, first 2 shown]
	v_mul_f64 v[149:150], v[119:120], s[38:39]
	v_add_f64 v[10:11], v[10:11], v[54:55]
	v_add_f64 v[8:9], v[8:9], v[52:53]
	;; [unrolled: 1-line block ×3, first 2 shown]
	v_fma_f64 v[145:146], v[74:75], s[30:31], -v[145:146]
	v_fma_f64 v[153:154], v[97:98], s[22:23], v[153:154]
	v_add_f64 v[143:144], v[48:49], v[143:144]
	v_add_f64 v[141:142], v[141:142], v[151:152]
	;; [unrolled: 1-line block ×3, first 2 shown]
	v_mul_f64 v[147:148], v[105:106], s[38:39]
	v_mul_f64 v[151:152], v[117:118], s[14:15]
	v_fma_f64 v[155:156], v[88:89], s[30:31], v[149:150]
	v_fma_f64 v[149:150], v[88:89], s[30:31], -v[149:150]
	v_add_f64 v[10:11], v[18:19], v[10:11]
	v_add_f64 v[16:17], v[16:17], v[8:9]
	v_fma_f64 v[139:140], v[72:73], s[26:27], -v[166:167]
	v_fma_f64 v[159:160], v[95:96], s[10:11], v[161:162]
	v_add_f64 v[143:144], v[153:154], v[143:144]
	v_add_f64 v[141:142], v[145:146], v[141:142]
	v_mul_f64 v[145:146], v[103:104], s[14:15]
	v_fma_f64 v[153:154], v[99:100], s[30:31], -v[147:148]
	v_mul_f64 v[161:162], v[84:85], s[18:19]
	v_fma_f64 v[166:167], v[86:87], s[10:11], v[151:152]
	v_mul_f64 v[180:181], v[80:81], s[44:45]
	v_fma_f64 v[151:152], v[86:87], s[10:11], -v[151:152]
	v_add_f64 v[149:150], v[50:51], v[149:150]
	v_fma_f64 v[147:148], v[99:100], s[30:31], v[147:148]
	v_mul_f64 v[119:120], v[119:120], s[40:41]
	v_add_f64 v[10:11], v[26:27], v[10:11]
	v_add_f64 v[16:17], v[24:25], v[16:17]
	v_add_f64 v[155:156], v[50:51], v[155:156]
	v_fma_f64 v[157:158], v[93:94], s[28:29], v[157:158]
	v_add_f64 v[143:144], v[159:160], v[143:144]
	v_mul_f64 v[159:160], v[107:108], s[18:19]
	v_fma_f64 v[176:177], v[97:98], s[10:11], -v[145:146]
	v_add_f64 v[153:154], v[48:49], v[153:154]
	v_fma_f64 v[182:183], v[90:91], s[22:23], v[161:162]
	v_fma_f64 v[184:185], v[82:83], s[26:27], v[180:181]
	v_fma_f64 v[161:162], v[90:91], s[22:23], -v[161:162]
	v_add_f64 v[149:150], v[151:152], v[149:150]
	v_fma_f64 v[145:146], v[97:98], s[10:11], v[145:146]
	v_add_f64 v[147:148], v[48:49], v[147:148]
	v_fma_f64 v[151:152], v[82:83], s[26:27], -v[180:181]
	v_mul_f64 v[117:118], v[117:118], s[38:39]
	v_fma_f64 v[180:181], v[88:89], s[28:29], v[119:120]
	v_mul_f64 v[24:25], v[105:106], s[40:41]
	v_add_f64 v[10:11], v[30:31], v[10:11]
	v_add_f64 v[16:17], v[28:29], v[16:17]
	;; [unrolled: 1-line block ×3, first 2 shown]
	v_fma_f64 v[166:167], v[109:110], s[38:39], v[178:179]
	v_add_f64 v[143:144], v[157:158], v[143:144]
	v_mul_f64 v[157:158], v[111:112], s[44:45]
	v_fma_f64 v[178:179], v[95:96], s[22:23], -v[159:160]
	v_add_f64 v[153:154], v[176:177], v[153:154]
	v_mul_f64 v[176:177], v[78:79], s[16:17]
	v_add_f64 v[149:150], v[161:162], v[149:150]
	v_fma_f64 v[159:160], v[95:96], s[22:23], v[159:160]
	v_add_f64 v[145:146], v[145:146], v[147:148]
	v_mul_f64 v[84:85], v[84:85], s[34:35]
	v_fma_f64 v[147:148], v[86:87], s[30:31], v[117:118]
	v_add_f64 v[161:162], v[50:51], v[180:181]
	v_fma_f64 v[88:89], v[88:89], s[28:29], -v[119:120]
	v_mul_f64 v[103:104], v[103:104], s[38:39]
	v_fma_f64 v[28:29], v[99:100], s[28:29], v[24:25]
	v_fma_f64 v[24:25], v[99:100], s[28:29], -v[24:25]
	v_add_f64 v[10:11], v[38:39], v[10:11]
	v_add_f64 v[16:17], v[36:37], v[16:17]
	v_fma_f64 v[164:165], v[101:102], s[20:21], v[164:165]
	v_add_f64 v[143:144], v[166:167], v[143:144]
	v_mul_f64 v[166:167], v[113:114], s[8:9]
	v_add_f64 v[153:154], v[178:179], v[153:154]
	v_mul_f64 v[178:179], v[76:77], s[24:25]
	v_fma_f64 v[186:187], v[74:75], s[8:9], v[176:177]
	v_fma_f64 v[176:177], v[74:75], s[8:9], -v[176:177]
	v_add_f64 v[56:57], v[151:152], v[149:150]
	v_fma_f64 v[58:59], v[93:94], s[26:27], v[157:158]
	v_add_f64 v[145:146], v[159:160], v[145:146]
	v_mul_f64 v[80:81], v[80:81], s[14:15]
	v_fma_f64 v[149:150], v[90:91], s[8:9], v[84:85]
	v_add_f64 v[147:148], v[147:148], v[161:162]
	v_mul_f64 v[30:31], v[107:108], s[34:35]
	v_fma_f64 v[86:87], v[86:87], s[30:31], -v[117:118]
	v_add_f64 v[50:51], v[50:51], v[88:89]
	v_fma_f64 v[88:89], v[97:98], s[30:31], v[103:104]
	v_add_f64 v[28:29], v[48:49], v[28:29]
	v_fma_f64 v[36:37], v[97:98], s[30:31], -v[103:104]
	v_add_f64 v[24:25], v[48:49], v[24:25]
	v_add_f64 v[10:11], v[34:35], v[10:11]
	;; [unrolled: 1-line block ×5, first 2 shown]
	v_fma_f64 v[143:144], v[72:73], s[28:29], v[178:179]
	v_fma_f64 v[178:179], v[72:73], s[28:29], -v[178:179]
	v_add_f64 v[52:53], v[176:177], v[56:57]
	v_fma_f64 v[54:55], v[109:110], s[16:17], v[166:167]
	v_add_f64 v[56:57], v[58:59], v[145:146]
	v_mul_f64 v[58:59], v[78:79], s[20:21]
	v_fma_f64 v[78:79], v[82:83], s[10:11], v[80:81]
	v_add_f64 v[145:146], v[149:150], v[147:148]
	v_mul_f64 v[105:106], v[111:112], s[14:15]
	v_fma_f64 v[38:39], v[90:91], s[8:9], -v[84:85]
	v_add_f64 v[48:49], v[86:87], v[50:51]
	v_fma_f64 v[50:51], v[95:96], s[8:9], v[30:31]
	v_add_f64 v[28:29], v[88:89], v[28:29]
	v_fma_f64 v[30:31], v[95:96], s[8:9], -v[30:31]
	v_add_f64 v[24:25], v[36:37], v[24:25]
	v_add_f64 v[10:11], v[22:23], v[10:11]
	;; [unrolled: 1-line block ×5, first 2 shown]
	v_mul_f64 v[54:55], v[76:77], s[18:19]
	v_add_f64 v[76:77], v[78:79], v[145:146]
	v_mul_f64 v[78:79], v[113:114], s[26:27]
	v_fma_f64 v[32:33], v[82:83], s[10:11], -v[80:81]
	v_add_f64 v[34:35], v[38:39], v[48:49]
	v_fma_f64 v[36:37], v[93:94], s[10:11], v[105:106]
	v_add_f64 v[20:21], v[50:51], v[28:29]
	v_add_f64 v[155:156], v[182:183], v[155:156]
	v_fma_f64 v[182:183], v[93:94], s[26:27], -v[157:158]
	v_fma_f64 v[22:23], v[93:94], s[10:11], -v[105:106]
	v_add_f64 v[24:25], v[30:31], v[24:25]
	v_add_f64 v[10:11], v[14:15], v[10:11]
	;; [unrolled: 1-line block ×3, first 2 shown]
	v_mul_f64 v[26:27], v[115:116], s[22:23]
	v_fma_f64 v[28:29], v[74:75], s[26:27], -v[58:59]
	v_add_f64 v[30:31], v[32:33], v[34:35]
	v_fma_f64 v[32:33], v[109:110], s[20:21], v[78:79]
	v_add_f64 v[14:15], v[36:37], v[20:21]
	v_add_f64 v[155:156], v[184:185], v[155:156]
	v_mul_f64 v[184:185], v[115:116], s[28:29]
	v_fma_f64 v[188:189], v[109:110], s[34:35], v[166:167]
	v_add_f64 v[153:154], v[182:183], v[153:154]
	v_fma_f64 v[56:57], v[74:75], s[26:27], v[58:59]
	v_fma_f64 v[16:17], v[109:110], s[44:45], v[78:79]
	v_add_f64 v[20:21], v[22:23], v[24:25]
	v_add_f64 v[6:7], v[6:7], v[10:11]
	;; [unrolled: 1-line block ×3, first 2 shown]
	v_fma_f64 v[22:23], v[72:73], s[22:23], -v[54:55]
	v_add_f64 v[24:25], v[28:29], v[30:31]
	v_fma_f64 v[28:29], v[101:102], s[18:19], v[26:27]
	v_add_f64 v[14:15], v[32:33], v[14:15]
	v_fma_f64 v[18:19], v[101:102], s[24:25], v[184:185]
	;; [unrolled: 2-line block ×5, first 2 shown]
	v_add_f64 v[34:35], v[16:17], v[20:21]
	v_add_f64 v[12:13], v[2:3], v[6:7]
	;; [unrolled: 1-line block ×6, first 2 shown]
	v_lshl_add_u32 v0, v163, 4, v175
	v_add_f64 v[16:17], v[143:144], v[155:156]
	v_add_f64 v[14:15], v[164:165], v[153:154]
	;; [unrolled: 1-line block ×4, first 2 shown]
	ds_write_b128 v0, v[10:13]
	ds_write_b128 v0, v[2:5] offset:16
	ds_write_b128 v0, v[6:9] offset:32
	ds_write_b128 v0, v[139:142] offset:48
	ds_write_b128 v0, v[131:134] offset:64
	ds_write_b128 v0, v[123:126] offset:80
	ds_write_b128 v0, v[68:71] offset:96
	ds_write_b128 v0, v[60:63] offset:112
	ds_write_b128 v0, v[64:67] offset:128
	ds_write_b128 v0, v[127:130] offset:144
	ds_write_b128 v0, v[135:138] offset:160
	ds_write_b128 v0, v[14:17] offset:176
	ds_write_b128 v0, v[18:21] offset:192
.LBB0_13:
	s_or_b64 exec, exec, s[4:5]
	s_waitcnt lgkmcnt(0)
	s_barrier
	ds_read_b128 v[0:3], v122 offset:208
	ds_read_b128 v[4:7], v122 offset:416
	s_mov_b32 s4, 0xe8584caa
	s_mov_b32 s5, 0xbfebb67a
	;; [unrolled: 1-line block ×3, first 2 shown]
	s_waitcnt lgkmcnt(1)
	v_mul_f64 v[8:9], v[46:47], v[2:3]
	v_mul_f64 v[10:11], v[46:47], v[0:1]
	s_waitcnt lgkmcnt(0)
	v_mul_f64 v[12:13], v[42:43], v[6:7]
	v_mul_f64 v[14:15], v[42:43], v[4:5]
	s_mov_b32 s8, s4
	v_fma_f64 v[8:9], v[44:45], v[0:1], v[8:9]
	v_fma_f64 v[10:11], v[44:45], v[2:3], -v[10:11]
	v_fma_f64 v[4:5], v[40:41], v[4:5], v[12:13]
	v_fma_f64 v[6:7], v[40:41], v[6:7], -v[14:15]
	ds_read_b128 v[0:3], v122
	s_waitcnt lgkmcnt(0)
	v_add_f64 v[16:17], v[0:1], v[8:9]
	v_add_f64 v[12:13], v[8:9], v[4:5]
	;; [unrolled: 1-line block ×3, first 2 shown]
	v_add_f64 v[18:19], v[10:11], -v[6:7]
	v_add_f64 v[10:11], v[2:3], v[10:11]
	v_add_f64 v[20:21], v[8:9], -v[4:5]
	v_fma_f64 v[8:9], v[12:13], -0.5, v[0:1]
	v_fma_f64 v[12:13], v[14:15], -0.5, v[2:3]
	v_add_f64 v[0:1], v[16:17], v[4:5]
	v_add_f64 v[2:3], v[10:11], v[6:7]
	v_fma_f64 v[4:5], v[18:19], s[4:5], v[8:9]
	v_fma_f64 v[6:7], v[20:21], s[8:9], v[12:13]
	;; [unrolled: 1-line block ×4, first 2 shown]
	ds_write_b128 v121, v[0:3]
	ds_write_b128 v121, v[4:7] offset:208
	ds_write_b128 v121, v[8:11] offset:416
	s_waitcnt lgkmcnt(0)
	s_barrier
	s_and_b64 exec, exec, vcc
	s_cbranch_execz .LBB0_15
; %bb.14:
	global_load_dwordx4 v[0:3], v171, s[6:7]
	global_load_dwordx4 v[4:7], v171, s[6:7] offset:48
	global_load_dwordx4 v[8:11], v171, s[6:7] offset:96
	;; [unrolled: 1-line block ×11, first 2 shown]
	v_mad_u64_u32 v[72:73], s[4:5], s2, v92, 0
	v_mad_u64_u32 v[74:75], s[8:9], s0, v172, 0
	;; [unrolled: 1-line block ×3, first 2 shown]
	s_mul_i32 s8, s1, 48
	s_mul_hi_u32 s9, s0, 48
	s_add_i32 s10, s9, s8
	v_mad_u64_u32 v[78:79], s[8:9], s3, v92, v[73:74]
	v_mad_u64_u32 v[79:80], s[8:9], s1, v172, v[75:76]
	v_mov_b32_e32 v73, v78
	v_lshlrev_b64 v[72:73], 4, v[72:73]
	v_mov_b32_e32 v75, v79
	v_mov_b32_e32 v82, s13
	v_lshlrev_b64 v[74:75], 4, v[74:75]
	v_add_co_u32_e32 v92, vcc, s12, v72
	v_addc_co_u32_e32 v94, vcc, v82, v73, vcc
	v_lshl_add_u32 v93, v174, 4, v171
	ds_read_b128 v[48:51], v121
	ds_read_b128 v[52:55], v93 offset:48
	v_add_co_u32_e32 v72, vcc, v92, v74
	s_mul_i32 s2, s0, 48
	v_addc_co_u32_e32 v73, vcc, v94, v75, vcc
	v_mov_b32_e32 v83, s10
	v_add_co_u32_e32 v74, vcc, s2, v72
	v_addc_co_u32_e32 v75, vcc, v73, v83, vcc
	ds_read_b128 v[56:59], v93 offset:96
	ds_read_b128 v[60:63], v93 offset:144
	;; [unrolled: 1-line block ×4, first 2 shown]
	v_mov_b32_e32 v84, s10
	v_mad_u64_u32 v[80:81], s[8:9], s1, v173, v[77:78]
	v_add_co_u32_e32 v78, vcc, s2, v74
	v_addc_co_u32_e32 v79, vcc, v75, v84, vcc
	s_mov_b32 s4, 0x1a41a41a
	s_mov_b32 s5, 0x3f9a41a4
	v_mov_b32_e32 v81, s10
	v_mov_b32_e32 v77, v80
	v_add_co_u32_e32 v80, vcc, s2, v78
	v_addc_co_u32_e32 v81, vcc, v79, v81, vcc
	s_mul_i32 s3, s1, 0x60
	s_waitcnt vmcnt(11) lgkmcnt(5)
	v_mul_f64 v[82:83], v[50:51], v[2:3]
	v_mul_f64 v[2:3], v[48:49], v[2:3]
	s_waitcnt vmcnt(10) lgkmcnt(4)
	v_mul_f64 v[84:85], v[54:55], v[6:7]
	v_mul_f64 v[6:7], v[52:53], v[6:7]
	;; [unrolled: 3-line block ×4, first 2 shown]
	v_fma_f64 v[48:49], v[48:49], v[0:1], v[82:83]
	v_fma_f64 v[2:3], v[0:1], v[50:51], -v[2:3]
	v_fma_f64 v[50:51], v[52:53], v[4:5], v[84:85]
	v_fma_f64 v[6:7], v[4:5], v[54:55], -v[6:7]
	v_fma_f64 v[52:53], v[56:57], v[8:9], v[86:87]
	v_fma_f64 v[10:11], v[8:9], v[58:59], -v[10:11]
	v_fma_f64 v[54:55], v[60:61], v[12:13], v[88:89]
	v_fma_f64 v[14:15], v[12:13], v[62:63], -v[14:15]
	v_mul_f64 v[0:1], v[48:49], s[4:5]
	v_mul_f64 v[2:3], v[2:3], s[4:5]
	;; [unrolled: 1-line block ×8, first 2 shown]
	global_store_dwordx4 v[72:73], v[0:3], off
	global_store_dwordx4 v[74:75], v[4:7], off
	;; [unrolled: 1-line block ×4, first 2 shown]
	global_load_dwordx4 v[8:11], v171, s[6:7] offset:576
	s_waitcnt vmcnt(12) lgkmcnt(1)
	v_mul_f64 v[90:91], v[66:67], v[18:19]
	v_mul_f64 v[18:19], v[64:65], v[18:19]
	s_waitcnt vmcnt(11) lgkmcnt(0)
	v_mul_f64 v[48:49], v[70:71], v[22:23]
	v_mul_f64 v[22:23], v[68:69], v[22:23]
	ds_read_b128 v[0:3], v93 offset:288
	ds_read_b128 v[4:7], v93 offset:336
	v_lshlrev_b64 v[12:13], 4, v[76:77]
	v_fma_f64 v[56:57], v[64:65], v[16:17], v[90:91]
	v_fma_f64 v[18:19], v[16:17], v[66:67], -v[18:19]
	v_fma_f64 v[14:15], v[68:69], v[20:21], v[48:49]
	v_fma_f64 v[20:21], v[20:21], v[70:71], -v[22:23]
	s_waitcnt vmcnt(10) lgkmcnt(1)
	v_mul_f64 v[22:23], v[2:3], v[26:27]
	v_mul_f64 v[26:27], v[0:1], v[26:27]
	v_add_co_u32_e32 v12, vcc, v92, v12
	v_mul_f64 v[16:17], v[56:57], s[4:5]
	v_mul_f64 v[18:19], v[18:19], s[4:5]
	v_addc_co_u32_e32 v13, vcc, v94, v13, vcc
	v_fma_f64 v[0:1], v[0:1], v[24:25], v[22:23]
	v_fma_f64 v[2:3], v[24:25], v[2:3], -v[26:27]
	v_mov_b32_e32 v48, 0x60
	v_mad_u64_u32 v[22:23], s[6:7], s0, v170, 0
	global_store_dwordx4 v[12:13], v[16:19], off
	v_mul_f64 v[12:13], v[14:15], s[4:5]
	v_mul_f64 v[14:15], v[20:21], s[4:5]
	s_waitcnt vmcnt(10) lgkmcnt(0)
	v_mul_f64 v[18:19], v[6:7], v[30:31]
	v_mul_f64 v[20:21], v[4:5], v[30:31]
	v_mul_f64 v[0:1], v[0:1], s[4:5]
	v_mul_f64 v[2:3], v[2:3], s[4:5]
	v_mad_u64_u32 v[16:17], s[6:7], s0, v48, v[80:81]
	v_mov_b32_e32 v25, s10
	v_add_u32_e32 v17, s3, v17
	global_store_dwordx4 v[16:17], v[12:15], off
	v_add_co_u32_e32 v16, vcc, s2, v16
	v_mov_b32_e32 v12, s10
	v_addc_co_u32_e32 v17, vcc, v17, v12, vcc
	v_fma_f64 v[4:5], v[4:5], v[28:29], v[18:19]
	v_fma_f64 v[6:7], v[28:29], v[6:7], -v[20:21]
	global_store_dwordx4 v[16:17], v[0:3], off
	ds_read_b128 v[0:3], v93 offset:384
	ds_read_b128 v[12:15], v93 offset:432
	v_add_co_u32_e32 v24, vcc, s2, v16
	v_mov_b32_e32 v16, v23
	s_waitcnt vmcnt(11) lgkmcnt(1)
	v_mul_f64 v[18:19], v[2:3], v[34:35]
	v_mul_f64 v[20:21], v[0:1], v[34:35]
	;; [unrolled: 1-line block ×4, first 2 shown]
	v_addc_co_u32_e32 v25, vcc, v17, v25, vcc
	v_mad_u64_u32 v[16:17], s[6:7], s1, v170, v[16:17]
	v_fma_f64 v[0:1], v[0:1], v[32:33], v[18:19]
	v_fma_f64 v[2:3], v[32:33], v[2:3], -v[20:21]
	s_waitcnt vmcnt(10) lgkmcnt(0)
	v_mul_f64 v[17:18], v[14:15], v[38:39]
	v_mul_f64 v[19:20], v[12:13], v[38:39]
	global_store_dwordx4 v[24:25], v[4:7], off
	ds_read_b128 v[4:7], v93 offset:480
	v_mov_b32_e32 v23, v16
	v_lshlrev_b64 v[21:22], 4, v[22:23]
	v_mul_f64 v[0:1], v[0:1], s[4:5]
	v_mul_f64 v[2:3], v[2:3], s[4:5]
	v_fma_f64 v[16:17], v[12:13], v[36:37], v[17:18]
	v_fma_f64 v[18:19], v[36:37], v[14:15], -v[19:20]
	ds_read_b128 v[12:15], v93 offset:528
	s_waitcnt vmcnt(10) lgkmcnt(1)
	v_mul_f64 v[26:27], v[6:7], v[42:43]
	v_mul_f64 v[28:29], v[4:5], v[42:43]
	v_add_co_u32_e32 v20, vcc, v92, v21
	v_addc_co_u32_e32 v21, vcc, v94, v22, vcc
	v_mul_f64 v[16:17], v[16:17], s[4:5]
	v_mul_f64 v[18:19], v[18:19], s[4:5]
	v_fma_f64 v[4:5], v[4:5], v[40:41], v[26:27]
	v_mad_u64_u32 v[22:23], s[6:7], s0, v48, v[24:25]
	v_fma_f64 v[24:25], v[40:41], v[6:7], -v[28:29]
	global_store_dwordx4 v[20:21], v[0:3], off
	s_waitcnt vmcnt(10) lgkmcnt(0)
	v_mul_f64 v[20:21], v[14:15], v[46:47]
	v_mul_f64 v[26:27], v[12:13], v[46:47]
	v_add_u32_e32 v23, s3, v23
	v_mul_f64 v[0:1], v[4:5], s[4:5]
	ds_read_b128 v[4:7], v93 offset:576
	global_store_dwordx4 v[22:23], v[16:19], off
	v_mul_f64 v[2:3], v[24:25], s[4:5]
	v_mov_b32_e32 v19, s10
	v_fma_f64 v[12:13], v[12:13], v[44:45], v[20:21]
	s_waitcnt vmcnt(6) lgkmcnt(0)
	v_mul_f64 v[16:17], v[6:7], v[10:11]
	v_mul_f64 v[10:11], v[4:5], v[10:11]
	v_fma_f64 v[14:15], v[44:45], v[14:15], -v[26:27]
	v_add_co_u32_e32 v18, vcc, s2, v22
	v_addc_co_u32_e32 v19, vcc, v23, v19, vcc
	global_store_dwordx4 v[18:19], v[0:3], off
	v_fma_f64 v[4:5], v[4:5], v[8:9], v[16:17]
	v_fma_f64 v[6:7], v[8:9], v[6:7], -v[10:11]
	v_mad_u64_u32 v[8:9], s[6:7], s0, v169, 0
	v_mul_f64 v[0:1], v[12:13], s[4:5]
	v_mul_f64 v[2:3], v[14:15], s[4:5]
	v_mov_b32_e32 v12, s10
	v_add_co_u32_e32 v10, vcc, s2, v18
	v_addc_co_u32_e32 v11, vcc, v19, v12, vcc
	v_mad_u64_u32 v[12:13], s[0:1], s1, v169, v[9:10]
	v_mul_f64 v[4:5], v[4:5], s[4:5]
	v_mul_f64 v[6:7], v[6:7], s[4:5]
	v_mov_b32_e32 v9, v12
	global_store_dwordx4 v[10:11], v[0:3], off
	s_nop 0
	v_lshlrev_b64 v[0:1], 4, v[8:9]
	v_add_co_u32_e32 v0, vcc, v92, v0
	v_addc_co_u32_e32 v1, vcc, v94, v1, vcc
	global_store_dwordx4 v[0:1], v[4:7], off
.LBB0_15:
	s_endpgm
	.section	.rodata,"a",@progbits
	.p2align	6, 0x0
	.amdhsa_kernel bluestein_single_fwd_len39_dim1_dp_op_CI_CI
		.amdhsa_group_segment_fixed_size 11856
		.amdhsa_private_segment_fixed_size 0
		.amdhsa_kernarg_size 104
		.amdhsa_user_sgpr_count 6
		.amdhsa_user_sgpr_private_segment_buffer 1
		.amdhsa_user_sgpr_dispatch_ptr 0
		.amdhsa_user_sgpr_queue_ptr 0
		.amdhsa_user_sgpr_kernarg_segment_ptr 1
		.amdhsa_user_sgpr_dispatch_id 0
		.amdhsa_user_sgpr_flat_scratch_init 0
		.amdhsa_user_sgpr_private_segment_size 0
		.amdhsa_uses_dynamic_stack 0
		.amdhsa_system_sgpr_private_segment_wavefront_offset 0
		.amdhsa_system_sgpr_workgroup_id_x 1
		.amdhsa_system_sgpr_workgroup_id_y 0
		.amdhsa_system_sgpr_workgroup_id_z 0
		.amdhsa_system_sgpr_workgroup_info 0
		.amdhsa_system_vgpr_workitem_id 0
		.amdhsa_next_free_vgpr 212
		.amdhsa_next_free_sgpr 48
		.amdhsa_reserve_vcc 1
		.amdhsa_reserve_flat_scratch 0
		.amdhsa_float_round_mode_32 0
		.amdhsa_float_round_mode_16_64 0
		.amdhsa_float_denorm_mode_32 3
		.amdhsa_float_denorm_mode_16_64 3
		.amdhsa_dx10_clamp 1
		.amdhsa_ieee_mode 1
		.amdhsa_fp16_overflow 0
		.amdhsa_exception_fp_ieee_invalid_op 0
		.amdhsa_exception_fp_denorm_src 0
		.amdhsa_exception_fp_ieee_div_zero 0
		.amdhsa_exception_fp_ieee_overflow 0
		.amdhsa_exception_fp_ieee_underflow 0
		.amdhsa_exception_fp_ieee_inexact 0
		.amdhsa_exception_int_div_zero 0
	.end_amdhsa_kernel
	.text
.Lfunc_end0:
	.size	bluestein_single_fwd_len39_dim1_dp_op_CI_CI, .Lfunc_end0-bluestein_single_fwd_len39_dim1_dp_op_CI_CI
                                        ; -- End function
	.section	.AMDGPU.csdata,"",@progbits
; Kernel info:
; codeLenInByte = 11960
; NumSgprs: 52
; NumVgprs: 212
; ScratchSize: 0
; MemoryBound: 0
; FloatMode: 240
; IeeeMode: 1
; LDSByteSize: 11856 bytes/workgroup (compile time only)
; SGPRBlocks: 6
; VGPRBlocks: 52
; NumSGPRsForWavesPerEU: 52
; NumVGPRsForWavesPerEU: 212
; Occupancy: 1
; WaveLimiterHint : 1
; COMPUTE_PGM_RSRC2:SCRATCH_EN: 0
; COMPUTE_PGM_RSRC2:USER_SGPR: 6
; COMPUTE_PGM_RSRC2:TRAP_HANDLER: 0
; COMPUTE_PGM_RSRC2:TGID_X_EN: 1
; COMPUTE_PGM_RSRC2:TGID_Y_EN: 0
; COMPUTE_PGM_RSRC2:TGID_Z_EN: 0
; COMPUTE_PGM_RSRC2:TIDIG_COMP_CNT: 0
	.type	__hip_cuid_700f94f7f15566fd,@object ; @__hip_cuid_700f94f7f15566fd
	.section	.bss,"aw",@nobits
	.globl	__hip_cuid_700f94f7f15566fd
__hip_cuid_700f94f7f15566fd:
	.byte	0                               ; 0x0
	.size	__hip_cuid_700f94f7f15566fd, 1

	.ident	"AMD clang version 19.0.0git (https://github.com/RadeonOpenCompute/llvm-project roc-6.4.0 25133 c7fe45cf4b819c5991fe208aaa96edf142730f1d)"
	.section	".note.GNU-stack","",@progbits
	.addrsig
	.addrsig_sym __hip_cuid_700f94f7f15566fd
	.amdgpu_metadata
---
amdhsa.kernels:
  - .args:
      - .actual_access:  read_only
        .address_space:  global
        .offset:         0
        .size:           8
        .value_kind:     global_buffer
      - .actual_access:  read_only
        .address_space:  global
        .offset:         8
        .size:           8
        .value_kind:     global_buffer
      - .actual_access:  read_only
        .address_space:  global
        .offset:         16
        .size:           8
        .value_kind:     global_buffer
      - .actual_access:  read_only
        .address_space:  global
        .offset:         24
        .size:           8
        .value_kind:     global_buffer
      - .actual_access:  read_only
        .address_space:  global
        .offset:         32
        .size:           8
        .value_kind:     global_buffer
      - .offset:         40
        .size:           8
        .value_kind:     by_value
      - .address_space:  global
        .offset:         48
        .size:           8
        .value_kind:     global_buffer
      - .address_space:  global
        .offset:         56
        .size:           8
        .value_kind:     global_buffer
      - .address_space:  global
        .offset:         64
        .size:           8
        .value_kind:     global_buffer
      - .address_space:  global
        .offset:         72
        .size:           8
        .value_kind:     global_buffer
      - .offset:         80
        .size:           4
        .value_kind:     by_value
      - .address_space:  global
        .offset:         88
        .size:           8
        .value_kind:     global_buffer
      - .address_space:  global
        .offset:         96
        .size:           8
        .value_kind:     global_buffer
    .group_segment_fixed_size: 11856
    .kernarg_segment_align: 8
    .kernarg_segment_size: 104
    .language:       OpenCL C
    .language_version:
      - 2
      - 0
    .max_flat_workgroup_size: 247
    .name:           bluestein_single_fwd_len39_dim1_dp_op_CI_CI
    .private_segment_fixed_size: 0
    .sgpr_count:     52
    .sgpr_spill_count: 0
    .symbol:         bluestein_single_fwd_len39_dim1_dp_op_CI_CI.kd
    .uniform_work_group_size: 1
    .uses_dynamic_stack: false
    .vgpr_count:     212
    .vgpr_spill_count: 0
    .wavefront_size: 64
amdhsa.target:   amdgcn-amd-amdhsa--gfx906
amdhsa.version:
  - 1
  - 2
...

	.end_amdgpu_metadata
